;; amdgpu-corpus repo=pytorch/pytorch kind=compiled arch=gfx1100 opt=O3
	.text
	.amdgcn_target "amdgcn-amd-amdhsa--gfx1100"
	.amdhsa_code_object_version 6
	.section	.text._ZN7rocprim17ROCPRIM_304000_NS6detail28radix_sort_block_sort_kernelINS1_36wrapped_radix_sort_block_sort_configINS0_13kernel_configILj256ELj4ELj4294967295EEEiN2at4cuda3cub6detail10OpaqueTypeILi1EEEEELb1EPKiPiPKSB_PSB_NS0_19identity_decomposerEEEvT1_T2_T3_T4_jT5_jj,"axG",@progbits,_ZN7rocprim17ROCPRIM_304000_NS6detail28radix_sort_block_sort_kernelINS1_36wrapped_radix_sort_block_sort_configINS0_13kernel_configILj256ELj4ELj4294967295EEEiN2at4cuda3cub6detail10OpaqueTypeILi1EEEEELb1EPKiPiPKSB_PSB_NS0_19identity_decomposerEEEvT1_T2_T3_T4_jT5_jj,comdat
	.protected	_ZN7rocprim17ROCPRIM_304000_NS6detail28radix_sort_block_sort_kernelINS1_36wrapped_radix_sort_block_sort_configINS0_13kernel_configILj256ELj4ELj4294967295EEEiN2at4cuda3cub6detail10OpaqueTypeILi1EEEEELb1EPKiPiPKSB_PSB_NS0_19identity_decomposerEEEvT1_T2_T3_T4_jT5_jj ; -- Begin function _ZN7rocprim17ROCPRIM_304000_NS6detail28radix_sort_block_sort_kernelINS1_36wrapped_radix_sort_block_sort_configINS0_13kernel_configILj256ELj4ELj4294967295EEEiN2at4cuda3cub6detail10OpaqueTypeILi1EEEEELb1EPKiPiPKSB_PSB_NS0_19identity_decomposerEEEvT1_T2_T3_T4_jT5_jj
	.globl	_ZN7rocprim17ROCPRIM_304000_NS6detail28radix_sort_block_sort_kernelINS1_36wrapped_radix_sort_block_sort_configINS0_13kernel_configILj256ELj4ELj4294967295EEEiN2at4cuda3cub6detail10OpaqueTypeILi1EEEEELb1EPKiPiPKSB_PSB_NS0_19identity_decomposerEEEvT1_T2_T3_T4_jT5_jj
	.p2align	8
	.type	_ZN7rocprim17ROCPRIM_304000_NS6detail28radix_sort_block_sort_kernelINS1_36wrapped_radix_sort_block_sort_configINS0_13kernel_configILj256ELj4ELj4294967295EEEiN2at4cuda3cub6detail10OpaqueTypeILi1EEEEELb1EPKiPiPKSB_PSB_NS0_19identity_decomposerEEEvT1_T2_T3_T4_jT5_jj,@function
_ZN7rocprim17ROCPRIM_304000_NS6detail28radix_sort_block_sort_kernelINS1_36wrapped_radix_sort_block_sort_configINS0_13kernel_configILj256ELj4ELj4294967295EEEiN2at4cuda3cub6detail10OpaqueTypeILi1EEEEELb1EPKiPiPKSB_PSB_NS0_19identity_decomposerEEEvT1_T2_T3_T4_jT5_jj: ; @_ZN7rocprim17ROCPRIM_304000_NS6detail28radix_sort_block_sort_kernelINS1_36wrapped_radix_sort_block_sort_configINS0_13kernel_configILj256ELj4ELj4294967295EEEiN2at4cuda3cub6detail10OpaqueTypeILi1EEEEELb1EPKiPiPKSB_PSB_NS0_19identity_decomposerEEEvT1_T2_T3_T4_jT5_jj
; %bb.0:
	s_clause 0x1
	s_load_b32 s2, s[0:1], 0x20
	s_load_b256 s[16:23], s[0:1], 0x0
	v_and_b32_e32 v8, 0x3ff, v0
	v_mbcnt_lo_u32_b32 v9, -1, 0
	s_lshl_b32 s24, s15, 10
	s_mov_b32 s25, 0
	s_delay_alu instid0(VALU_DEP_2) | instskip(NEXT) | instid1(VALU_DEP_2)
	v_lshlrev_b32_e32 v13, 2, v8
	v_lshlrev_b32_e32 v1, 2, v9
	s_delay_alu instid0(VALU_DEP_2) | instskip(NEXT) | instid1(VALU_DEP_1)
	v_and_b32_e32 v11, 0x380, v13
	v_lshlrev_b32_e32 v2, 2, v11
	v_add_nc_u32_e32 v10, v9, v11
	s_waitcnt lgkmcnt(0)
	s_lshr_b32 s3, s2, 10
	s_delay_alu instid0(SALU_CYCLE_1) | instskip(SKIP_2) | instid1(SALU_CYCLE_1)
	s_cmp_lg_u32 s15, s3
	s_cselect_b32 s28, -1, 0
	s_lshl_b64 s[26:27], s[24:25], 2
	s_add_u32 s4, s16, s26
	s_addc_u32 s5, s17, s27
	v_add_co_u32 v1, s4, s4, v1
	s_delay_alu instid0(VALU_DEP_1) | instskip(SKIP_1) | instid1(VALU_DEP_2)
	v_add_co_ci_u32_e64 v3, null, s5, 0, s4
	s_cmp_eq_u32 s15, s3
	v_add_co_u32 v5, vcc_lo, v1, v2
	s_delay_alu instid0(VALU_DEP_2)
	v_add_co_ci_u32_e32 v6, vcc_lo, 0, v3, vcc_lo
	s_mov_b32 s3, -1
	s_cbranch_scc1 .LBB0_2
; %bb.1:
	s_add_u32 s3, s20, s24
	s_addc_u32 s4, s21, 0
	v_add_co_u32 v1, s3, s3, v9
	s_delay_alu instid0(VALU_DEP_1) | instskip(SKIP_1) | instid1(VALU_DEP_3)
	v_add_co_ci_u32_e64 v2, null, s4, 0, s3
	v_add_nc_u32_e32 v17, v9, v11
	v_add_co_u32 v14, vcc_lo, v1, v11
	s_delay_alu instid0(VALU_DEP_3)
	v_add_co_ci_u32_e32 v15, vcc_lo, 0, v2, vcc_lo
	s_clause 0x3
	global_load_b32 v1, v[5:6], off
	global_load_b32 v2, v[5:6], off offset:128
	global_load_b32 v3, v[5:6], off offset:256
	;; [unrolled: 1-line block ×3, first 2 shown]
	s_clause 0x3
	global_load_u8 v7, v[14:15], off
	global_load_u8 v37, v[14:15], off offset:32
	global_load_u8 v38, v[14:15], off offset:64
	;; [unrolled: 1-line block ×3, first 2 shown]
	v_add_nc_u32_e32 v14, 32, v17
	v_add_nc_u32_e32 v15, 64, v17
	;; [unrolled: 1-line block ×3, first 2 shown]
	s_mov_b32 s3, s25
	s_delay_alu instid0(SALU_CYCLE_1)
	s_and_not1_b32 vcc_lo, exec_lo, s3
	s_sub_i32 s16, s2, s24
	s_cbranch_vccz .LBB0_3
	s_branch .LBB0_17
.LBB0_2:
                                        ; implicit-def: $vgpr1_vgpr2_vgpr3_vgpr4
                                        ; implicit-def: $vgpr7
                                        ; implicit-def: $vgpr37
                                        ; implicit-def: $vgpr38
                                        ; implicit-def: $vgpr39
                                        ; implicit-def: $vgpr17
                                        ; implicit-def: $vgpr14
                                        ; implicit-def: $vgpr15
                                        ; implicit-def: $vgpr16
	s_and_not1_b32 vcc_lo, exec_lo, s3
	s_sub_i32 s16, s2, s24
	s_cbranch_vccnz .LBB0_17
.LBB0_3:
	s_brev_b32 s4, 1
	v_cmp_gt_u32_e32 vcc_lo, s16, v10
	s_mov_b32 s5, s4
	s_mov_b32 s6, s4
	;; [unrolled: 1-line block ×3, first 2 shown]
	s_waitcnt vmcnt(4)
	v_dual_mov_b32 v1, s4 :: v_dual_mov_b32 v2, s5
	v_dual_mov_b32 v3, s6 :: v_dual_mov_b32 v4, s7
	s_and_saveexec_b32 s2, vcc_lo
	s_cbranch_execz .LBB0_5
; %bb.4:
	global_load_b32 v1, v[5:6], off
	v_bfrev_b32_e32 v2, 1
	s_delay_alu instid0(VALU_DEP_1)
	v_mov_b32_e32 v3, v2
	v_mov_b32_e32 v4, v2
.LBB0_5:
	s_or_b32 exec_lo, exec_lo, s2
	v_add_nc_u32_e32 v14, 32, v10
	s_delay_alu instid0(VALU_DEP_1) | instskip(NEXT) | instid1(VALU_DEP_1)
	v_cmp_gt_u32_e64 s2, s16, v14
	s_and_saveexec_b32 s3, s2
	s_cbranch_execz .LBB0_7
; %bb.6:
	global_load_b32 v2, v[5:6], off offset:128
.LBB0_7:
	s_or_b32 exec_lo, exec_lo, s3
	v_add_nc_u32_e32 v15, 64, v10
	s_delay_alu instid0(VALU_DEP_1) | instskip(NEXT) | instid1(VALU_DEP_1)
	v_cmp_gt_u32_e64 s3, s16, v15
	s_and_saveexec_b32 s4, s3
	s_cbranch_execz .LBB0_9
; %bb.8:
	global_load_b32 v3, v[5:6], off offset:256
.LBB0_9:
	;; [unrolled: 9-line block ×3, first 2 shown]
	s_or_b32 exec_lo, exec_lo, s5
	s_add_u32 s5, s20, s24
	s_addc_u32 s6, s21, 0
	v_add_co_u32 v5, s5, s5, v9
	s_delay_alu instid0(VALU_DEP_1) | instskip(NEXT) | instid1(VALU_DEP_2)
	v_add_co_ci_u32_e64 v6, null, s6, 0, s5
                                        ; implicit-def: $vgpr7
	v_add_co_u32 v5, s5, v5, v11
	s_delay_alu instid0(VALU_DEP_1)
	v_add_co_ci_u32_e64 v6, s5, 0, v6, s5
	s_and_saveexec_b32 s5, vcc_lo
	s_cbranch_execnz .LBB0_54
; %bb.12:
	s_or_b32 exec_lo, exec_lo, s5
                                        ; implicit-def: $vgpr37
	s_and_saveexec_b32 s5, s2
	s_cbranch_execnz .LBB0_55
.LBB0_13:
	s_or_b32 exec_lo, exec_lo, s5
                                        ; implicit-def: $vgpr38
	s_and_saveexec_b32 s2, s3
	s_cbranch_execnz .LBB0_56
.LBB0_14:
	s_or_b32 exec_lo, exec_lo, s2
                                        ; implicit-def: $vgpr39
	s_and_saveexec_b32 s2, s4
	s_cbranch_execz .LBB0_16
.LBB0_15:
	global_load_u8 v39, v[5:6], off offset:96
.LBB0_16:
	s_or_b32 exec_lo, exec_lo, s2
	v_mov_b32_e32 v17, v10
.LBB0_17:
	s_clause 0x1
	s_load_b32 s4, s[0:1], 0x3c
	s_load_b64 s[14:15], s[0:1], 0x28
	s_waitcnt vmcnt(0)
	v_xor_b32_e32 v5, 0x7fffffff, v1
	v_xor_b32_e32 v1, 0x7fffffff, v2
	;; [unrolled: 1-line block ×4, first 2 shown]
	v_bfe_u32 v4, v0, 10, 10
	v_bfe_u32 v0, v0, 20, 10
	v_and_b32_e32 v10, 0x3e0, v8
	v_add_nc_u32_e32 v20, -1, v9
	v_lshrrev_b32_e32 v23, 3, v8
	s_mov_b32 s20, 0
	v_and_b32_e32 v12, 16, v9
	v_and_b32_e32 v24, 7, v9
	v_cmp_gt_i32_e32 vcc_lo, 0, v20
	s_mov_b32 s21, s20
	v_lshlrev_b32_e32 v18, 5, v8
	s_mov_b32 s30, s20
	s_mov_b32 s31, s20
	v_and_b32_e32 v6, 15, v9
	s_waitcnt lgkmcnt(0)
	s_lshr_b32 s3, s4, 16
	s_and_b32 s4, s4, 0xffff
	v_mad_u32_u24 v0, v0, s3, v4
	v_min_u32_e32 v4, 0xe0, v10
	v_cmp_eq_u32_e64 s6, 0, v12
	v_cmp_eq_u32_e64 s8, 0, v9
	v_cmp_gt_u32_e64 s0, 8, v8
	v_mad_u64_u32 v[10:11], null, v0, s4, v[8:9]
	v_dual_mov_b32 v11, s30 :: v_dual_cndmask_b32 v0, v20, v9
	v_and_b32_e32 v23, 0x7c, v23
	v_or_b32_e32 v4, 31, v4
	v_cmp_lt_u32_e64 s1, 31, v8
	v_cmp_eq_u32_e64 s2, 0, v6
	v_lshrrev_b32_e32 v22, 5, v10
	v_mov_b32_e32 v9, s20
	v_dual_mov_b32 v10, s21 :: v_dual_add_nc_u32 v19, 32, v18
	v_cmp_lt_u32_e64 s3, 1, v6
	v_cmp_lt_u32_e64 s4, 3, v6
	;; [unrolled: 1-line block ×3, first 2 shown]
	v_dual_mov_b32 v12, s31 :: v_dual_lshlrev_b32 v21, 2, v0
	v_cmp_eq_u32_e64 s7, v4, v8
	v_cmp_eq_u32_e64 s9, 0, v8
	v_mul_i32_i24_e32 v20, 0xffffffe4, v8
	v_cmp_eq_u32_e64 s10, 0, v24
	v_cmp_lt_u32_e64 s11, 1, v24
	v_cmp_lt_u32_e64 s12, 3, v24
	v_add_nc_u32_e32 v24, -4, v23
	v_lshlrev_b32_e32 v25, 2, v17
	v_lshlrev_b32_e32 v26, 2, v14
	;; [unrolled: 1-line block ×4, first 2 shown]
	s_add_i32 s17, s15, s14
	s_branch .LBB0_19
.LBB0_18:                               ;   in Loop: Header=BB0_19 Depth=1
	s_barrier
	buffer_gl0_inv
	ds_store_b32 v42, v29
	ds_store_b32 v43, v36
	;; [unrolled: 1-line block ×4, first 2 shown]
	s_waitcnt lgkmcnt(0)
	s_barrier
	buffer_gl0_inv
	ds_load_b32 v5, v25
	ds_load_b32 v1, v26
	;; [unrolled: 1-line block ×4, first 2 shown]
	s_waitcnt lgkmcnt(0)
	s_barrier
	buffer_gl0_inv
	ds_store_b8 v0, v33
	ds_store_b8 v4, v32
	;; [unrolled: 1-line block ×4, first 2 shown]
	s_waitcnt lgkmcnt(0)
	s_barrier
	buffer_gl0_inv
	ds_load_u8 v7, v17
	ds_load_u8 v37, v14
	;; [unrolled: 1-line block ×4, first 2 shown]
	s_add_i32 s15, s15, -8
	s_waitcnt lgkmcnt(0)
	s_barrier
	buffer_gl0_inv
	s_cbranch_execz .LBB0_35
.LBB0_19:                               ; =>This Inner Loop Header: Depth=1
	s_min_u32 s13, s15, 8
	ds_store_2addr_b64 v18, v[9:10], v[11:12] offset0:4 offset1:5
	ds_store_2addr_b64 v19, v[9:10], v[11:12] offset0:2 offset1:3
	s_lshl_b32 s13, -1, s13
	s_waitcnt lgkmcnt(0)
	s_not_b32 s20, s13
	v_mov_b32_e32 v29, v5
	s_barrier
	buffer_gl0_inv
	; wave barrier
	v_lshrrev_b32_e32 v0, s14, v29
	v_mov_b32_e32 v36, v1
	s_delay_alu instid0(VALU_DEP_2) | instskip(NEXT) | instid1(VALU_DEP_1)
	v_and_b32_e32 v4, s20, v0
	v_and_b32_e32 v0, 1, v4
	v_lshlrev_b32_e32 v5, 30, v4
	v_lshlrev_b32_e32 v6, 29, v4
	;; [unrolled: 1-line block ×4, first 2 shown]
	v_add_co_u32 v0, s13, v0, -1
	s_delay_alu instid0(VALU_DEP_1)
	v_cndmask_b32_e64 v31, 0, 1, s13
	v_not_b32_e32 v35, v5
	v_cmp_gt_i32_e64 s13, 0, v5
	v_not_b32_e32 v5, v6
	v_lshlrev_b32_e32 v33, 26, v4
	v_cmp_ne_u32_e32 vcc_lo, 0, v31
	v_ashrrev_i32_e32 v35, 31, v35
	v_lshlrev_b32_e32 v34, 25, v4
	v_ashrrev_i32_e32 v5, 31, v5
	v_lshlrev_b32_e32 v31, 24, v4
	v_xor_b32_e32 v0, vcc_lo, v0
	v_cmp_gt_i32_e32 vcc_lo, 0, v6
	v_not_b32_e32 v6, v30
	v_xor_b32_e32 v35, s13, v35
	v_cmp_gt_i32_e64 s13, 0, v30
	v_and_b32_e32 v0, exec_lo, v0
	v_not_b32_e32 v30, v32
	v_ashrrev_i32_e32 v6, 31, v6
	v_xor_b32_e32 v5, vcc_lo, v5
	v_cmp_gt_i32_e32 vcc_lo, 0, v32
	v_and_b32_e32 v0, v0, v35
	v_not_b32_e32 v32, v33
	v_ashrrev_i32_e32 v30, 31, v30
	v_xor_b32_e32 v6, s13, v6
	v_cmp_gt_i32_e64 s13, 0, v33
	v_and_b32_e32 v0, v0, v5
	v_ashrrev_i32_e32 v32, 31, v32
	v_xor_b32_e32 v30, vcc_lo, v30
	v_not_b32_e32 v5, v34
	v_cmp_gt_i32_e32 vcc_lo, 0, v34
	v_and_b32_e32 v0, v0, v6
	v_xor_b32_e32 v32, s13, v32
	v_lshl_add_u32 v1, v4, 3, v22
	v_ashrrev_i32_e32 v5, 31, v5
	v_mov_b32_e32 v34, v3
	v_dual_mov_b32 v35, v2 :: v_dual_and_b32 v0, v0, v30
	v_mov_b32_e32 v33, v7
	s_delay_alu instid0(VALU_DEP_4) | instskip(SKIP_1) | instid1(VALU_DEP_4)
	v_xor_b32_e32 v5, vcc_lo, v5
	v_mov_b32_e32 v30, v39
	v_and_b32_e32 v0, v0, v32
	v_mov_b32_e32 v32, v37
	v_not_b32_e32 v6, v31
	v_cmp_gt_i32_e64 s13, 0, v31
	s_delay_alu instid0(VALU_DEP_4) | instskip(SKIP_1) | instid1(VALU_DEP_4)
	v_dual_mov_b32 v31, v38 :: v_dual_and_b32 v0, v0, v5
	v_lshl_add_u32 v38, v1, 2, 32
	v_ashrrev_i32_e32 v6, 31, v6
	s_delay_alu instid0(VALU_DEP_1) | instskip(NEXT) | instid1(VALU_DEP_1)
	v_xor_b32_e32 v6, s13, v6
	v_and_b32_e32 v0, v0, v6
	s_delay_alu instid0(VALU_DEP_1) | instskip(SKIP_1) | instid1(VALU_DEP_2)
	v_mbcnt_lo_u32_b32 v37, v0, 0
	v_cmp_ne_u32_e64 s13, 0, v0
	v_cmp_eq_u32_e32 vcc_lo, 0, v37
	s_delay_alu instid0(VALU_DEP_2) | instskip(NEXT) | instid1(SALU_CYCLE_1)
	s_and_b32 s21, s13, vcc_lo
	s_and_saveexec_b32 s13, s21
	s_cbranch_execz .LBB0_21
; %bb.20:                               ;   in Loop: Header=BB0_19 Depth=1
	v_bcnt_u32_b32 v0, v0, 0
	ds_store_b32 v38, v0
.LBB0_21:                               ;   in Loop: Header=BB0_19 Depth=1
	s_or_b32 exec_lo, exec_lo, s13
	v_lshrrev_b32_e32 v0, s14, v36
	; wave barrier
	s_delay_alu instid0(VALU_DEP_1) | instskip(NEXT) | instid1(VALU_DEP_1)
	v_and_b32_e32 v0, s20, v0
	v_and_b32_e32 v1, 1, v0
	v_lshlrev_b32_e32 v2, 30, v0
	v_lshlrev_b32_e32 v3, 29, v0
	;; [unrolled: 1-line block ×4, first 2 shown]
	v_add_co_u32 v1, s13, v1, -1
	s_delay_alu instid0(VALU_DEP_1)
	v_cndmask_b32_e64 v5, 0, 1, s13
	v_not_b32_e32 v40, v2
	v_cmp_gt_i32_e64 s13, 0, v2
	v_not_b32_e32 v2, v3
	v_lshlrev_b32_e32 v7, 26, v0
	v_cmp_ne_u32_e32 vcc_lo, 0, v5
	v_ashrrev_i32_e32 v40, 31, v40
	v_lshlrev_b32_e32 v39, 25, v0
	v_ashrrev_i32_e32 v2, 31, v2
	v_lshlrev_b32_e32 v5, 24, v0
	v_xor_b32_e32 v1, vcc_lo, v1
	v_cmp_gt_i32_e32 vcc_lo, 0, v3
	v_not_b32_e32 v3, v4
	v_xor_b32_e32 v40, s13, v40
	v_cmp_gt_i32_e64 s13, 0, v4
	v_and_b32_e32 v1, exec_lo, v1
	v_not_b32_e32 v4, v6
	v_ashrrev_i32_e32 v3, 31, v3
	v_xor_b32_e32 v2, vcc_lo, v2
	v_cmp_gt_i32_e32 vcc_lo, 0, v6
	v_and_b32_e32 v1, v1, v40
	v_not_b32_e32 v6, v7
	v_ashrrev_i32_e32 v4, 31, v4
	v_xor_b32_e32 v3, s13, v3
	v_cmp_gt_i32_e64 s13, 0, v7
	v_and_b32_e32 v1, v1, v2
	v_not_b32_e32 v2, v39
	v_ashrrev_i32_e32 v6, 31, v6
	v_xor_b32_e32 v4, vcc_lo, v4
	v_cmp_gt_i32_e32 vcc_lo, 0, v39
	v_and_b32_e32 v1, v1, v3
	v_not_b32_e32 v3, v5
	v_ashrrev_i32_e32 v2, 31, v2
	v_xor_b32_e32 v6, s13, v6
	v_lshlrev_b32_e32 v0, 3, v0
	v_and_b32_e32 v1, v1, v4
	v_cmp_gt_i32_e64 s13, 0, v5
	v_ashrrev_i32_e32 v3, 31, v3
	v_xor_b32_e32 v2, vcc_lo, v2
	v_add_lshl_u32 v4, v0, v22, 2
	v_and_b32_e32 v1, v1, v6
	s_delay_alu instid0(VALU_DEP_4) | instskip(SKIP_3) | instid1(VALU_DEP_2)
	v_xor_b32_e32 v0, s13, v3
	ds_load_b32 v39, v4 offset:32
	v_and_b32_e32 v1, v1, v2
	v_add_nc_u32_e32 v41, 32, v4
	; wave barrier
	v_and_b32_e32 v0, v1, v0
	s_delay_alu instid0(VALU_DEP_1) | instskip(SKIP_1) | instid1(VALU_DEP_2)
	v_mbcnt_lo_u32_b32 v40, v0, 0
	v_cmp_ne_u32_e64 s13, 0, v0
	v_cmp_eq_u32_e32 vcc_lo, 0, v40
	s_delay_alu instid0(VALU_DEP_2) | instskip(NEXT) | instid1(SALU_CYCLE_1)
	s_and_b32 s21, s13, vcc_lo
	s_and_saveexec_b32 s13, s21
	s_cbranch_execz .LBB0_23
; %bb.22:                               ;   in Loop: Header=BB0_19 Depth=1
	s_waitcnt lgkmcnt(0)
	v_bcnt_u32_b32 v0, v0, v39
	ds_store_b32 v41, v0
.LBB0_23:                               ;   in Loop: Header=BB0_19 Depth=1
	s_or_b32 exec_lo, exec_lo, s13
	v_lshrrev_b32_e32 v0, s14, v35
	; wave barrier
	s_delay_alu instid0(VALU_DEP_1) | instskip(NEXT) | instid1(VALU_DEP_1)
	v_and_b32_e32 v0, s20, v0
	v_and_b32_e32 v1, 1, v0
	v_lshlrev_b32_e32 v2, 30, v0
	v_lshlrev_b32_e32 v3, 29, v0
	;; [unrolled: 1-line block ×4, first 2 shown]
	v_add_co_u32 v1, s13, v1, -1
	s_delay_alu instid0(VALU_DEP_1)
	v_cndmask_b32_e64 v5, 0, 1, s13
	v_not_b32_e32 v43, v2
	v_cmp_gt_i32_e64 s13, 0, v2
	v_not_b32_e32 v2, v3
	v_lshlrev_b32_e32 v7, 26, v0
	v_cmp_ne_u32_e32 vcc_lo, 0, v5
	v_ashrrev_i32_e32 v43, 31, v43
	v_lshlrev_b32_e32 v42, 25, v0
	v_ashrrev_i32_e32 v2, 31, v2
	v_lshlrev_b32_e32 v5, 24, v0
	v_xor_b32_e32 v1, vcc_lo, v1
	v_cmp_gt_i32_e32 vcc_lo, 0, v3
	v_not_b32_e32 v3, v4
	v_xor_b32_e32 v43, s13, v43
	v_cmp_gt_i32_e64 s13, 0, v4
	v_and_b32_e32 v1, exec_lo, v1
	v_not_b32_e32 v4, v6
	v_ashrrev_i32_e32 v3, 31, v3
	v_xor_b32_e32 v2, vcc_lo, v2
	v_cmp_gt_i32_e32 vcc_lo, 0, v6
	v_and_b32_e32 v1, v1, v43
	v_not_b32_e32 v6, v7
	v_ashrrev_i32_e32 v4, 31, v4
	v_xor_b32_e32 v3, s13, v3
	v_cmp_gt_i32_e64 s13, 0, v7
	v_and_b32_e32 v1, v1, v2
	v_not_b32_e32 v2, v42
	v_ashrrev_i32_e32 v6, 31, v6
	v_xor_b32_e32 v4, vcc_lo, v4
	v_cmp_gt_i32_e32 vcc_lo, 0, v42
	v_and_b32_e32 v1, v1, v3
	v_not_b32_e32 v3, v5
	v_ashrrev_i32_e32 v2, 31, v2
	v_xor_b32_e32 v6, s13, v6
	v_lshlrev_b32_e32 v0, 3, v0
	v_and_b32_e32 v1, v1, v4
	v_cmp_gt_i32_e64 s13, 0, v5
	v_ashrrev_i32_e32 v3, 31, v3
	v_xor_b32_e32 v2, vcc_lo, v2
	v_add_lshl_u32 v4, v0, v22, 2
	v_and_b32_e32 v1, v1, v6
	s_delay_alu instid0(VALU_DEP_4) | instskip(SKIP_3) | instid1(VALU_DEP_2)
	v_xor_b32_e32 v0, s13, v3
	ds_load_b32 v42, v4 offset:32
	v_and_b32_e32 v1, v1, v2
	v_add_nc_u32_e32 v44, 32, v4
	; wave barrier
	v_and_b32_e32 v0, v1, v0
	s_delay_alu instid0(VALU_DEP_1) | instskip(SKIP_1) | instid1(VALU_DEP_2)
	v_mbcnt_lo_u32_b32 v43, v0, 0
	v_cmp_ne_u32_e64 s13, 0, v0
	v_cmp_eq_u32_e32 vcc_lo, 0, v43
	s_delay_alu instid0(VALU_DEP_2) | instskip(NEXT) | instid1(SALU_CYCLE_1)
	s_and_b32 s21, s13, vcc_lo
	s_and_saveexec_b32 s13, s21
	s_cbranch_execz .LBB0_25
; %bb.24:                               ;   in Loop: Header=BB0_19 Depth=1
	s_waitcnt lgkmcnt(0)
	v_bcnt_u32_b32 v0, v0, v42
	ds_store_b32 v44, v0
.LBB0_25:                               ;   in Loop: Header=BB0_19 Depth=1
	s_or_b32 exec_lo, exec_lo, s13
	v_lshrrev_b32_e32 v0, s14, v34
	; wave barrier
	s_delay_alu instid0(VALU_DEP_1) | instskip(NEXT) | instid1(VALU_DEP_1)
	v_and_b32_e32 v0, s20, v0
	v_and_b32_e32 v1, 1, v0
	v_lshlrev_b32_e32 v2, 30, v0
	v_lshlrev_b32_e32 v3, 29, v0
	;; [unrolled: 1-line block ×4, first 2 shown]
	v_add_co_u32 v1, s13, v1, -1
	s_delay_alu instid0(VALU_DEP_1)
	v_cndmask_b32_e64 v5, 0, 1, s13
	v_not_b32_e32 v46, v2
	v_cmp_gt_i32_e64 s13, 0, v2
	v_not_b32_e32 v2, v3
	v_lshlrev_b32_e32 v7, 26, v0
	v_cmp_ne_u32_e32 vcc_lo, 0, v5
	v_ashrrev_i32_e32 v46, 31, v46
	v_lshlrev_b32_e32 v45, 25, v0
	v_ashrrev_i32_e32 v2, 31, v2
	v_lshlrev_b32_e32 v5, 24, v0
	v_xor_b32_e32 v1, vcc_lo, v1
	v_cmp_gt_i32_e32 vcc_lo, 0, v3
	v_not_b32_e32 v3, v4
	v_xor_b32_e32 v46, s13, v46
	v_cmp_gt_i32_e64 s13, 0, v4
	v_and_b32_e32 v1, exec_lo, v1
	v_not_b32_e32 v4, v6
	v_ashrrev_i32_e32 v3, 31, v3
	v_xor_b32_e32 v2, vcc_lo, v2
	v_cmp_gt_i32_e32 vcc_lo, 0, v6
	v_and_b32_e32 v1, v1, v46
	v_not_b32_e32 v6, v7
	v_ashrrev_i32_e32 v4, 31, v4
	v_xor_b32_e32 v3, s13, v3
	v_cmp_gt_i32_e64 s13, 0, v7
	v_and_b32_e32 v1, v1, v2
	v_not_b32_e32 v2, v45
	v_ashrrev_i32_e32 v6, 31, v6
	v_xor_b32_e32 v4, vcc_lo, v4
	v_cmp_gt_i32_e32 vcc_lo, 0, v45
	v_and_b32_e32 v1, v1, v3
	v_not_b32_e32 v3, v5
	v_ashrrev_i32_e32 v2, 31, v2
	v_xor_b32_e32 v6, s13, v6
	v_lshlrev_b32_e32 v0, 3, v0
	v_and_b32_e32 v1, v1, v4
	v_cmp_gt_i32_e64 s13, 0, v5
	v_ashrrev_i32_e32 v3, 31, v3
	v_xor_b32_e32 v2, vcc_lo, v2
	v_add_lshl_u32 v4, v0, v22, 2
	v_and_b32_e32 v1, v1, v6
	s_delay_alu instid0(VALU_DEP_4) | instskip(SKIP_3) | instid1(VALU_DEP_2)
	v_xor_b32_e32 v0, s13, v3
	ds_load_b32 v45, v4 offset:32
	v_and_b32_e32 v1, v1, v2
	v_add_nc_u32_e32 v47, 32, v4
	; wave barrier
	v_and_b32_e32 v0, v1, v0
	s_delay_alu instid0(VALU_DEP_1) | instskip(SKIP_1) | instid1(VALU_DEP_2)
	v_mbcnt_lo_u32_b32 v46, v0, 0
	v_cmp_ne_u32_e64 s13, 0, v0
	v_cmp_eq_u32_e32 vcc_lo, 0, v46
	s_delay_alu instid0(VALU_DEP_2) | instskip(NEXT) | instid1(SALU_CYCLE_1)
	s_and_b32 s20, s13, vcc_lo
	s_and_saveexec_b32 s13, s20
	s_cbranch_execz .LBB0_27
; %bb.26:                               ;   in Loop: Header=BB0_19 Depth=1
	s_waitcnt lgkmcnt(0)
	v_bcnt_u32_b32 v0, v0, v45
	ds_store_b32 v47, v0
.LBB0_27:                               ;   in Loop: Header=BB0_19 Depth=1
	s_or_b32 exec_lo, exec_lo, s13
	; wave barrier
	s_waitcnt lgkmcnt(0)
	s_barrier
	buffer_gl0_inv
	ds_load_2addr_b64 v[4:7], v18 offset0:4 offset1:5
	ds_load_2addr_b64 v[0:3], v19 offset0:2 offset1:3
	s_waitcnt lgkmcnt(1)
	v_add_nc_u32_e32 v48, v5, v4
	s_delay_alu instid0(VALU_DEP_1) | instskip(SKIP_1) | instid1(VALU_DEP_1)
	v_add3_u32 v48, v48, v6, v7
	s_waitcnt lgkmcnt(0)
	v_add3_u32 v48, v48, v0, v1
	s_delay_alu instid0(VALU_DEP_1) | instskip(NEXT) | instid1(VALU_DEP_1)
	v_add3_u32 v3, v48, v2, v3
	v_mov_b32_dpp v48, v3 row_shr:1 row_mask:0xf bank_mask:0xf
	s_delay_alu instid0(VALU_DEP_1) | instskip(NEXT) | instid1(VALU_DEP_1)
	v_cndmask_b32_e64 v48, v48, 0, s2
	v_add_nc_u32_e32 v3, v48, v3
	s_delay_alu instid0(VALU_DEP_1) | instskip(NEXT) | instid1(VALU_DEP_1)
	v_mov_b32_dpp v48, v3 row_shr:2 row_mask:0xf bank_mask:0xf
	v_cndmask_b32_e64 v48, 0, v48, s3
	s_delay_alu instid0(VALU_DEP_1) | instskip(NEXT) | instid1(VALU_DEP_1)
	v_add_nc_u32_e32 v3, v3, v48
	v_mov_b32_dpp v48, v3 row_shr:4 row_mask:0xf bank_mask:0xf
	s_delay_alu instid0(VALU_DEP_1) | instskip(NEXT) | instid1(VALU_DEP_1)
	v_cndmask_b32_e64 v48, 0, v48, s4
	v_add_nc_u32_e32 v3, v3, v48
	s_delay_alu instid0(VALU_DEP_1) | instskip(NEXT) | instid1(VALU_DEP_1)
	v_mov_b32_dpp v48, v3 row_shr:8 row_mask:0xf bank_mask:0xf
	v_cndmask_b32_e64 v48, 0, v48, s5
	s_delay_alu instid0(VALU_DEP_1) | instskip(SKIP_3) | instid1(VALU_DEP_1)
	v_add_nc_u32_e32 v3, v3, v48
	ds_swizzle_b32 v48, v3 offset:swizzle(BROADCAST,32,15)
	s_waitcnt lgkmcnt(0)
	v_cndmask_b32_e64 v48, v48, 0, s6
	v_add_nc_u32_e32 v3, v3, v48
	s_and_saveexec_b32 s13, s7
	s_cbranch_execz .LBB0_29
; %bb.28:                               ;   in Loop: Header=BB0_19 Depth=1
	ds_store_b32 v23, v3
.LBB0_29:                               ;   in Loop: Header=BB0_19 Depth=1
	s_or_b32 exec_lo, exec_lo, s13
	s_waitcnt lgkmcnt(0)
	s_barrier
	buffer_gl0_inv
	s_and_saveexec_b32 s13, s0
	s_cbranch_execz .LBB0_31
; %bb.30:                               ;   in Loop: Header=BB0_19 Depth=1
	v_add_nc_u32_e32 v48, v18, v20
	ds_load_b32 v49, v48
	s_waitcnt lgkmcnt(0)
	v_mov_b32_dpp v50, v49 row_shr:1 row_mask:0xf bank_mask:0xf
	s_delay_alu instid0(VALU_DEP_1) | instskip(NEXT) | instid1(VALU_DEP_1)
	v_cndmask_b32_e64 v50, v50, 0, s10
	v_add_nc_u32_e32 v49, v50, v49
	s_delay_alu instid0(VALU_DEP_1) | instskip(NEXT) | instid1(VALU_DEP_1)
	v_mov_b32_dpp v50, v49 row_shr:2 row_mask:0xf bank_mask:0xf
	v_cndmask_b32_e64 v50, 0, v50, s11
	s_delay_alu instid0(VALU_DEP_1) | instskip(NEXT) | instid1(VALU_DEP_1)
	v_add_nc_u32_e32 v49, v49, v50
	v_mov_b32_dpp v50, v49 row_shr:4 row_mask:0xf bank_mask:0xf
	s_delay_alu instid0(VALU_DEP_1) | instskip(NEXT) | instid1(VALU_DEP_1)
	v_cndmask_b32_e64 v50, 0, v50, s12
	v_add_nc_u32_e32 v49, v49, v50
	ds_store_b32 v48, v49
.LBB0_31:                               ;   in Loop: Header=BB0_19 Depth=1
	s_or_b32 exec_lo, exec_lo, s13
	v_mov_b32_e32 v48, 0
	s_waitcnt lgkmcnt(0)
	s_barrier
	buffer_gl0_inv
	s_and_saveexec_b32 s13, s1
	s_cbranch_execz .LBB0_33
; %bb.32:                               ;   in Loop: Header=BB0_19 Depth=1
	ds_load_b32 v48, v24
.LBB0_33:                               ;   in Loop: Header=BB0_19 Depth=1
	s_or_b32 exec_lo, exec_lo, s13
	s_waitcnt lgkmcnt(0)
	v_add_nc_u32_e32 v3, v48, v3
	s_add_i32 s14, s14, 8
	s_delay_alu instid0(SALU_CYCLE_1) | instskip(SKIP_3) | instid1(VALU_DEP_1)
	s_cmp_ge_u32 s14, s17
	ds_bpermute_b32 v3, v21, v3
	s_waitcnt lgkmcnt(0)
	v_cndmask_b32_e64 v3, v3, v48, s8
	v_cndmask_b32_e64 v3, v3, 0, s9
	s_delay_alu instid0(VALU_DEP_1) | instskip(NEXT) | instid1(VALU_DEP_1)
	v_add_nc_u32_e32 v4, v3, v4
	v_add_nc_u32_e32 v5, v4, v5
	s_delay_alu instid0(VALU_DEP_1) | instskip(NEXT) | instid1(VALU_DEP_1)
	v_add_nc_u32_e32 v6, v5, v6
	v_add_nc_u32_e32 v48, v6, v7
	;; [unrolled: 3-line block ×3, first 2 shown]
	s_delay_alu instid0(VALU_DEP_1)
	v_add_nc_u32_e32 v1, v0, v2
	ds_store_2addr_b64 v18, v[3:4], v[5:6] offset0:4 offset1:5
	ds_store_2addr_b64 v19, v[48:49], v[0:1] offset0:2 offset1:3
	s_waitcnt lgkmcnt(0)
	s_barrier
	buffer_gl0_inv
	ds_load_b32 v0, v38
	ds_load_b32 v1, v41
	ds_load_b32 v2, v44
	ds_load_b32 v3, v47
	s_waitcnt lgkmcnt(0)
	v_add_nc_u32_e32 v0, v0, v37
	v_add3_u32 v4, v40, v39, v1
	v_add3_u32 v6, v43, v42, v2
	v_add3_u32 v40, v46, v45, v3
	s_delay_alu instid0(VALU_DEP_4) | instskip(NEXT) | instid1(VALU_DEP_4)
	v_lshlrev_b32_e32 v42, 2, v0
	v_lshlrev_b32_e32 v43, 2, v4
	s_delay_alu instid0(VALU_DEP_4) | instskip(NEXT) | instid1(VALU_DEP_4)
	v_lshlrev_b32_e32 v44, 2, v6
	v_lshlrev_b32_e32 v41, 2, v40
	s_cbranch_scc0 .LBB0_18
; %bb.34:
                                        ; implicit-def: $vgpr3
                                        ; implicit-def: $vgpr2
                                        ; implicit-def: $vgpr1
                                        ; implicit-def: $vgpr5
                                        ; implicit-def: $sgpr14
                                        ; implicit-def: $vgpr7
                                        ; implicit-def: $vgpr37
                                        ; implicit-def: $vgpr38
                                        ; implicit-def: $vgpr39
.LBB0_35:
	v_add_nc_u32_e32 v1, v18, v20
	s_barrier
	buffer_gl0_inv
	ds_store_b32 v42, v29
	ds_store_b32 v43, v36
	;; [unrolled: 1-line block ×4, first 2 shown]
	s_waitcnt lgkmcnt(0)
	s_barrier
	buffer_gl0_inv
	ds_load_b32 v1, v1
	ds_load_2addr_stride64_b32 v[11:12], v13 offset0:4 offset1:8
	ds_load_b32 v14, v13 offset:3072
	s_waitcnt lgkmcnt(0)
	s_barrier
	buffer_gl0_inv
	ds_store_b8 v0, v33
	ds_store_b8 v4, v32
	;; [unrolled: 1-line block ×4, first 2 shown]
	s_waitcnt lgkmcnt(0)
	s_barrier
	buffer_gl0_inv
	ds_load_u8 v5, v8
	ds_load_u8 v4, v8 offset:256
	ds_load_u8 v3, v8 offset:512
	;; [unrolled: 1-line block ×3, first 2 shown]
	s_add_u32 s0, s18, s26
	s_addc_u32 s1, s19, s27
	v_add_co_u32 v0, s0, s0, v13
	s_mov_b32 s2, 0
	s_and_not1_b32 vcc_lo, exec_lo, s28
	v_xor_b32_e32 v10, 0x7fffffff, v1
	v_xor_b32_e32 v7, 0x7fffffff, v11
	;; [unrolled: 1-line block ×4, first 2 shown]
	v_add_co_ci_u32_e64 v1, null, s1, 0, s0
	s_mov_b32 s0, -1
	s_cbranch_vccz .LBB0_39
; %bb.36:
	s_and_not1_b32 vcc_lo, exec_lo, s0
	s_cbranch_vccz .LBB0_40
.LBB0_37:
	s_and_saveexec_b32 s0, s2
	s_cbranch_execnz .LBB0_53
.LBB0_38:
	s_nop 0
	s_sendmsg sendmsg(MSG_DEALLOC_VGPRS)
	s_endpgm
.LBB0_39:
	s_add_u32 s0, s22, s24
	s_addc_u32 s1, s23, 0
	v_add_co_u32 v11, s0, s0, v8
	s_delay_alu instid0(VALU_DEP_1)
	v_add_co_ci_u32_e64 v12, null, s1, 0, s0
	s_mov_b32 s2, -1
	s_clause 0x3
	global_store_b32 v[0:1], v10, off
	global_store_b32 v[0:1], v7, off offset:1024
	global_store_b32 v[0:1], v9, off offset:2048
	;; [unrolled: 1-line block ×3, first 2 shown]
	s_waitcnt lgkmcnt(3)
	global_store_b8 v[11:12], v5, off
	s_waitcnt lgkmcnt(2)
	global_store_b8 v[11:12], v4, off offset:256
	s_waitcnt lgkmcnt(1)
	global_store_b8 v[11:12], v3, off offset:512
	s_cbranch_execnz .LBB0_37
.LBB0_40:
	v_cmp_gt_u32_e32 vcc_lo, s16, v8
	s_and_saveexec_b32 s0, vcc_lo
	s_cbranch_execz .LBB0_42
; %bb.41:
	global_store_b32 v[0:1], v10, off
.LBB0_42:
	s_or_b32 exec_lo, exec_lo, s0
	v_add_nc_u32_e32 v10, 0x100, v8
	s_delay_alu instid0(VALU_DEP_1) | instskip(NEXT) | instid1(VALU_DEP_1)
	v_cmp_gt_u32_e64 s0, s16, v10
	s_and_saveexec_b32 s1, s0
	s_cbranch_execz .LBB0_44
; %bb.43:
	global_store_b32 v[0:1], v7, off offset:1024
.LBB0_44:
	s_or_b32 exec_lo, exec_lo, s1
	v_add_nc_u32_e32 v7, 0x200, v8
	s_delay_alu instid0(VALU_DEP_1) | instskip(NEXT) | instid1(VALU_DEP_1)
	v_cmp_gt_u32_e64 s1, s16, v7
	s_and_saveexec_b32 s2, s1
	s_cbranch_execz .LBB0_46
; %bb.45:
	global_store_b32 v[0:1], v9, off offset:2048
.LBB0_46:
	;; [unrolled: 9-line block ×3, first 2 shown]
	s_or_b32 exec_lo, exec_lo, s3
	s_add_u32 s3, s22, s24
	s_addc_u32 s4, s23, 0
	v_add_co_u32 v0, s3, s3, v8
	s_delay_alu instid0(VALU_DEP_1)
	v_add_co_ci_u32_e64 v1, null, s4, 0, s3
	s_and_saveexec_b32 s3, vcc_lo
	s_cbranch_execnz .LBB0_57
; %bb.49:
	s_or_b32 exec_lo, exec_lo, s3
	s_and_saveexec_b32 s3, s0
	s_cbranch_execnz .LBB0_58
.LBB0_50:
	s_or_b32 exec_lo, exec_lo, s3
	s_and_saveexec_b32 s0, s1
	s_cbranch_execz .LBB0_52
.LBB0_51:
	s_waitcnt lgkmcnt(1)
	global_store_b8 v[0:1], v3, off offset:512
.LBB0_52:
	s_or_b32 exec_lo, exec_lo, s0
	s_and_saveexec_b32 s0, s2
	s_cbranch_execz .LBB0_38
.LBB0_53:
	s_add_u32 s0, s22, s24
	s_addc_u32 s1, s23, 0
	v_add_co_u32 v0, s0, s0, v8
	s_delay_alu instid0(VALU_DEP_1)
	v_add_co_ci_u32_e64 v1, null, s1, 0, s0
	s_waitcnt lgkmcnt(0)
	global_store_b8 v[0:1], v2, off offset:768
	s_nop 0
	s_sendmsg sendmsg(MSG_DEALLOC_VGPRS)
	s_endpgm
.LBB0_54:
	global_load_u8 v7, v[5:6], off
	s_or_b32 exec_lo, exec_lo, s5
                                        ; implicit-def: $vgpr37
	s_and_saveexec_b32 s5, s2
	s_cbranch_execz .LBB0_13
.LBB0_55:
	global_load_u8 v37, v[5:6], off offset:32
	s_or_b32 exec_lo, exec_lo, s5
                                        ; implicit-def: $vgpr38
	s_and_saveexec_b32 s2, s3
	s_cbranch_execz .LBB0_14
.LBB0_56:
	global_load_u8 v38, v[5:6], off offset:64
	s_or_b32 exec_lo, exec_lo, s2
                                        ; implicit-def: $vgpr39
	s_and_saveexec_b32 s2, s4
	s_cbranch_execnz .LBB0_15
	s_branch .LBB0_16
.LBB0_57:
	s_waitcnt lgkmcnt(3)
	global_store_b8 v[0:1], v5, off
	s_or_b32 exec_lo, exec_lo, s3
	s_and_saveexec_b32 s3, s0
	s_cbranch_execz .LBB0_50
.LBB0_58:
	s_waitcnt lgkmcnt(2)
	global_store_b8 v[0:1], v4, off offset:256
	s_or_b32 exec_lo, exec_lo, s3
	s_and_saveexec_b32 s0, s1
	s_cbranch_execnz .LBB0_51
	s_branch .LBB0_52
	.section	.rodata,"a",@progbits
	.p2align	6, 0x0
	.amdhsa_kernel _ZN7rocprim17ROCPRIM_304000_NS6detail28radix_sort_block_sort_kernelINS1_36wrapped_radix_sort_block_sort_configINS0_13kernel_configILj256ELj4ELj4294967295EEEiN2at4cuda3cub6detail10OpaqueTypeILi1EEEEELb1EPKiPiPKSB_PSB_NS0_19identity_decomposerEEEvT1_T2_T3_T4_jT5_jj
		.amdhsa_group_segment_fixed_size 8224
		.amdhsa_private_segment_fixed_size 0
		.amdhsa_kernarg_size 304
		.amdhsa_user_sgpr_count 15
		.amdhsa_user_sgpr_dispatch_ptr 0
		.amdhsa_user_sgpr_queue_ptr 0
		.amdhsa_user_sgpr_kernarg_segment_ptr 1
		.amdhsa_user_sgpr_dispatch_id 0
		.amdhsa_user_sgpr_private_segment_size 0
		.amdhsa_wavefront_size32 1
		.amdhsa_uses_dynamic_stack 0
		.amdhsa_enable_private_segment 0
		.amdhsa_system_sgpr_workgroup_id_x 1
		.amdhsa_system_sgpr_workgroup_id_y 0
		.amdhsa_system_sgpr_workgroup_id_z 0
		.amdhsa_system_sgpr_workgroup_info 0
		.amdhsa_system_vgpr_workitem_id 2
		.amdhsa_next_free_vgpr 51
		.amdhsa_next_free_sgpr 32
		.amdhsa_reserve_vcc 1
		.amdhsa_float_round_mode_32 0
		.amdhsa_float_round_mode_16_64 0
		.amdhsa_float_denorm_mode_32 3
		.amdhsa_float_denorm_mode_16_64 3
		.amdhsa_dx10_clamp 1
		.amdhsa_ieee_mode 1
		.amdhsa_fp16_overflow 0
		.amdhsa_workgroup_processor_mode 1
		.amdhsa_memory_ordered 1
		.amdhsa_forward_progress 0
		.amdhsa_shared_vgpr_count 0
		.amdhsa_exception_fp_ieee_invalid_op 0
		.amdhsa_exception_fp_denorm_src 0
		.amdhsa_exception_fp_ieee_div_zero 0
		.amdhsa_exception_fp_ieee_overflow 0
		.amdhsa_exception_fp_ieee_underflow 0
		.amdhsa_exception_fp_ieee_inexact 0
		.amdhsa_exception_int_div_zero 0
	.end_amdhsa_kernel
	.section	.text._ZN7rocprim17ROCPRIM_304000_NS6detail28radix_sort_block_sort_kernelINS1_36wrapped_radix_sort_block_sort_configINS0_13kernel_configILj256ELj4ELj4294967295EEEiN2at4cuda3cub6detail10OpaqueTypeILi1EEEEELb1EPKiPiPKSB_PSB_NS0_19identity_decomposerEEEvT1_T2_T3_T4_jT5_jj,"axG",@progbits,_ZN7rocprim17ROCPRIM_304000_NS6detail28radix_sort_block_sort_kernelINS1_36wrapped_radix_sort_block_sort_configINS0_13kernel_configILj256ELj4ELj4294967295EEEiN2at4cuda3cub6detail10OpaqueTypeILi1EEEEELb1EPKiPiPKSB_PSB_NS0_19identity_decomposerEEEvT1_T2_T3_T4_jT5_jj,comdat
.Lfunc_end0:
	.size	_ZN7rocprim17ROCPRIM_304000_NS6detail28radix_sort_block_sort_kernelINS1_36wrapped_radix_sort_block_sort_configINS0_13kernel_configILj256ELj4ELj4294967295EEEiN2at4cuda3cub6detail10OpaqueTypeILi1EEEEELb1EPKiPiPKSB_PSB_NS0_19identity_decomposerEEEvT1_T2_T3_T4_jT5_jj, .Lfunc_end0-_ZN7rocprim17ROCPRIM_304000_NS6detail28radix_sort_block_sort_kernelINS1_36wrapped_radix_sort_block_sort_configINS0_13kernel_configILj256ELj4ELj4294967295EEEiN2at4cuda3cub6detail10OpaqueTypeILi1EEEEELb1EPKiPiPKSB_PSB_NS0_19identity_decomposerEEEvT1_T2_T3_T4_jT5_jj
                                        ; -- End function
	.section	.AMDGPU.csdata,"",@progbits
; Kernel info:
; codeLenInByte = 3948
; NumSgprs: 34
; NumVgprs: 51
; ScratchSize: 0
; MemoryBound: 0
; FloatMode: 240
; IeeeMode: 1
; LDSByteSize: 8224 bytes/workgroup (compile time only)
; SGPRBlocks: 4
; VGPRBlocks: 6
; NumSGPRsForWavesPerEU: 34
; NumVGPRsForWavesPerEU: 51
; Occupancy: 16
; WaveLimiterHint : 1
; COMPUTE_PGM_RSRC2:SCRATCH_EN: 0
; COMPUTE_PGM_RSRC2:USER_SGPR: 15
; COMPUTE_PGM_RSRC2:TRAP_HANDLER: 0
; COMPUTE_PGM_RSRC2:TGID_X_EN: 1
; COMPUTE_PGM_RSRC2:TGID_Y_EN: 0
; COMPUTE_PGM_RSRC2:TGID_Z_EN: 0
; COMPUTE_PGM_RSRC2:TIDIG_COMP_CNT: 2
	.section	.text._ZN7rocprim17ROCPRIM_304000_NS6detail39device_merge_sort_compile_time_verifierINS1_36wrapped_merge_sort_block_sort_configINS1_28merge_sort_block_sort_configILj256ELj4ELNS0_20block_sort_algorithmE0EEEiN2at4cuda3cub6detail10OpaqueTypeILi1EEEEENS1_37wrapped_merge_sort_block_merge_configINS0_14default_configEiSC_EEEEvv,"axG",@progbits,_ZN7rocprim17ROCPRIM_304000_NS6detail39device_merge_sort_compile_time_verifierINS1_36wrapped_merge_sort_block_sort_configINS1_28merge_sort_block_sort_configILj256ELj4ELNS0_20block_sort_algorithmE0EEEiN2at4cuda3cub6detail10OpaqueTypeILi1EEEEENS1_37wrapped_merge_sort_block_merge_configINS0_14default_configEiSC_EEEEvv,comdat
	.protected	_ZN7rocprim17ROCPRIM_304000_NS6detail39device_merge_sort_compile_time_verifierINS1_36wrapped_merge_sort_block_sort_configINS1_28merge_sort_block_sort_configILj256ELj4ELNS0_20block_sort_algorithmE0EEEiN2at4cuda3cub6detail10OpaqueTypeILi1EEEEENS1_37wrapped_merge_sort_block_merge_configINS0_14default_configEiSC_EEEEvv ; -- Begin function _ZN7rocprim17ROCPRIM_304000_NS6detail39device_merge_sort_compile_time_verifierINS1_36wrapped_merge_sort_block_sort_configINS1_28merge_sort_block_sort_configILj256ELj4ELNS0_20block_sort_algorithmE0EEEiN2at4cuda3cub6detail10OpaqueTypeILi1EEEEENS1_37wrapped_merge_sort_block_merge_configINS0_14default_configEiSC_EEEEvv
	.globl	_ZN7rocprim17ROCPRIM_304000_NS6detail39device_merge_sort_compile_time_verifierINS1_36wrapped_merge_sort_block_sort_configINS1_28merge_sort_block_sort_configILj256ELj4ELNS0_20block_sort_algorithmE0EEEiN2at4cuda3cub6detail10OpaqueTypeILi1EEEEENS1_37wrapped_merge_sort_block_merge_configINS0_14default_configEiSC_EEEEvv
	.p2align	8
	.type	_ZN7rocprim17ROCPRIM_304000_NS6detail39device_merge_sort_compile_time_verifierINS1_36wrapped_merge_sort_block_sort_configINS1_28merge_sort_block_sort_configILj256ELj4ELNS0_20block_sort_algorithmE0EEEiN2at4cuda3cub6detail10OpaqueTypeILi1EEEEENS1_37wrapped_merge_sort_block_merge_configINS0_14default_configEiSC_EEEEvv,@function
_ZN7rocprim17ROCPRIM_304000_NS6detail39device_merge_sort_compile_time_verifierINS1_36wrapped_merge_sort_block_sort_configINS1_28merge_sort_block_sort_configILj256ELj4ELNS0_20block_sort_algorithmE0EEEiN2at4cuda3cub6detail10OpaqueTypeILi1EEEEENS1_37wrapped_merge_sort_block_merge_configINS0_14default_configEiSC_EEEEvv: ; @_ZN7rocprim17ROCPRIM_304000_NS6detail39device_merge_sort_compile_time_verifierINS1_36wrapped_merge_sort_block_sort_configINS1_28merge_sort_block_sort_configILj256ELj4ELNS0_20block_sort_algorithmE0EEEiN2at4cuda3cub6detail10OpaqueTypeILi1EEEEENS1_37wrapped_merge_sort_block_merge_configINS0_14default_configEiSC_EEEEvv
; %bb.0:
	s_endpgm
	.section	.rodata,"a",@progbits
	.p2align	6, 0x0
	.amdhsa_kernel _ZN7rocprim17ROCPRIM_304000_NS6detail39device_merge_sort_compile_time_verifierINS1_36wrapped_merge_sort_block_sort_configINS1_28merge_sort_block_sort_configILj256ELj4ELNS0_20block_sort_algorithmE0EEEiN2at4cuda3cub6detail10OpaqueTypeILi1EEEEENS1_37wrapped_merge_sort_block_merge_configINS0_14default_configEiSC_EEEEvv
		.amdhsa_group_segment_fixed_size 0
		.amdhsa_private_segment_fixed_size 0
		.amdhsa_kernarg_size 0
		.amdhsa_user_sgpr_count 15
		.amdhsa_user_sgpr_dispatch_ptr 0
		.amdhsa_user_sgpr_queue_ptr 0
		.amdhsa_user_sgpr_kernarg_segment_ptr 0
		.amdhsa_user_sgpr_dispatch_id 0
		.amdhsa_user_sgpr_private_segment_size 0
		.amdhsa_wavefront_size32 1
		.amdhsa_uses_dynamic_stack 0
		.amdhsa_enable_private_segment 0
		.amdhsa_system_sgpr_workgroup_id_x 1
		.amdhsa_system_sgpr_workgroup_id_y 0
		.amdhsa_system_sgpr_workgroup_id_z 0
		.amdhsa_system_sgpr_workgroup_info 0
		.amdhsa_system_vgpr_workitem_id 0
		.amdhsa_next_free_vgpr 1
		.amdhsa_next_free_sgpr 1
		.amdhsa_reserve_vcc 0
		.amdhsa_float_round_mode_32 0
		.amdhsa_float_round_mode_16_64 0
		.amdhsa_float_denorm_mode_32 3
		.amdhsa_float_denorm_mode_16_64 3
		.amdhsa_dx10_clamp 1
		.amdhsa_ieee_mode 1
		.amdhsa_fp16_overflow 0
		.amdhsa_workgroup_processor_mode 1
		.amdhsa_memory_ordered 1
		.amdhsa_forward_progress 0
		.amdhsa_shared_vgpr_count 0
		.amdhsa_exception_fp_ieee_invalid_op 0
		.amdhsa_exception_fp_denorm_src 0
		.amdhsa_exception_fp_ieee_div_zero 0
		.amdhsa_exception_fp_ieee_overflow 0
		.amdhsa_exception_fp_ieee_underflow 0
		.amdhsa_exception_fp_ieee_inexact 0
		.amdhsa_exception_int_div_zero 0
	.end_amdhsa_kernel
	.section	.text._ZN7rocprim17ROCPRIM_304000_NS6detail39device_merge_sort_compile_time_verifierINS1_36wrapped_merge_sort_block_sort_configINS1_28merge_sort_block_sort_configILj256ELj4ELNS0_20block_sort_algorithmE0EEEiN2at4cuda3cub6detail10OpaqueTypeILi1EEEEENS1_37wrapped_merge_sort_block_merge_configINS0_14default_configEiSC_EEEEvv,"axG",@progbits,_ZN7rocprim17ROCPRIM_304000_NS6detail39device_merge_sort_compile_time_verifierINS1_36wrapped_merge_sort_block_sort_configINS1_28merge_sort_block_sort_configILj256ELj4ELNS0_20block_sort_algorithmE0EEEiN2at4cuda3cub6detail10OpaqueTypeILi1EEEEENS1_37wrapped_merge_sort_block_merge_configINS0_14default_configEiSC_EEEEvv,comdat
.Lfunc_end1:
	.size	_ZN7rocprim17ROCPRIM_304000_NS6detail39device_merge_sort_compile_time_verifierINS1_36wrapped_merge_sort_block_sort_configINS1_28merge_sort_block_sort_configILj256ELj4ELNS0_20block_sort_algorithmE0EEEiN2at4cuda3cub6detail10OpaqueTypeILi1EEEEENS1_37wrapped_merge_sort_block_merge_configINS0_14default_configEiSC_EEEEvv, .Lfunc_end1-_ZN7rocprim17ROCPRIM_304000_NS6detail39device_merge_sort_compile_time_verifierINS1_36wrapped_merge_sort_block_sort_configINS1_28merge_sort_block_sort_configILj256ELj4ELNS0_20block_sort_algorithmE0EEEiN2at4cuda3cub6detail10OpaqueTypeILi1EEEEENS1_37wrapped_merge_sort_block_merge_configINS0_14default_configEiSC_EEEEvv
                                        ; -- End function
	.section	.AMDGPU.csdata,"",@progbits
; Kernel info:
; codeLenInByte = 4
; NumSgprs: 0
; NumVgprs: 0
; ScratchSize: 0
; MemoryBound: 0
; FloatMode: 240
; IeeeMode: 1
; LDSByteSize: 0 bytes/workgroup (compile time only)
; SGPRBlocks: 0
; VGPRBlocks: 0
; NumSGPRsForWavesPerEU: 1
; NumVGPRsForWavesPerEU: 1
; Occupancy: 16
; WaveLimiterHint : 0
; COMPUTE_PGM_RSRC2:SCRATCH_EN: 0
; COMPUTE_PGM_RSRC2:USER_SGPR: 15
; COMPUTE_PGM_RSRC2:TRAP_HANDLER: 0
; COMPUTE_PGM_RSRC2:TGID_X_EN: 1
; COMPUTE_PGM_RSRC2:TGID_Y_EN: 0
; COMPUTE_PGM_RSRC2:TGID_Z_EN: 0
; COMPUTE_PGM_RSRC2:TIDIG_COMP_CNT: 0
	.section	.text._ZN7rocprim17ROCPRIM_304000_NS6detail45device_block_merge_mergepath_partition_kernelINS1_37wrapped_merge_sort_block_merge_configINS0_14default_configEiN2at4cuda3cub6detail10OpaqueTypeILi1EEEEEPijNS1_19radix_merge_compareILb1ELb0EiNS0_19identity_decomposerEEEEEvT0_T1_jPSH_T2_SH_,"axG",@progbits,_ZN7rocprim17ROCPRIM_304000_NS6detail45device_block_merge_mergepath_partition_kernelINS1_37wrapped_merge_sort_block_merge_configINS0_14default_configEiN2at4cuda3cub6detail10OpaqueTypeILi1EEEEEPijNS1_19radix_merge_compareILb1ELb0EiNS0_19identity_decomposerEEEEEvT0_T1_jPSH_T2_SH_,comdat
	.protected	_ZN7rocprim17ROCPRIM_304000_NS6detail45device_block_merge_mergepath_partition_kernelINS1_37wrapped_merge_sort_block_merge_configINS0_14default_configEiN2at4cuda3cub6detail10OpaqueTypeILi1EEEEEPijNS1_19radix_merge_compareILb1ELb0EiNS0_19identity_decomposerEEEEEvT0_T1_jPSH_T2_SH_ ; -- Begin function _ZN7rocprim17ROCPRIM_304000_NS6detail45device_block_merge_mergepath_partition_kernelINS1_37wrapped_merge_sort_block_merge_configINS0_14default_configEiN2at4cuda3cub6detail10OpaqueTypeILi1EEEEEPijNS1_19radix_merge_compareILb1ELb0EiNS0_19identity_decomposerEEEEEvT0_T1_jPSH_T2_SH_
	.globl	_ZN7rocprim17ROCPRIM_304000_NS6detail45device_block_merge_mergepath_partition_kernelINS1_37wrapped_merge_sort_block_merge_configINS0_14default_configEiN2at4cuda3cub6detail10OpaqueTypeILi1EEEEEPijNS1_19radix_merge_compareILb1ELb0EiNS0_19identity_decomposerEEEEEvT0_T1_jPSH_T2_SH_
	.p2align	8
	.type	_ZN7rocprim17ROCPRIM_304000_NS6detail45device_block_merge_mergepath_partition_kernelINS1_37wrapped_merge_sort_block_merge_configINS0_14default_configEiN2at4cuda3cub6detail10OpaqueTypeILi1EEEEEPijNS1_19radix_merge_compareILb1ELb0EiNS0_19identity_decomposerEEEEEvT0_T1_jPSH_T2_SH_,@function
_ZN7rocprim17ROCPRIM_304000_NS6detail45device_block_merge_mergepath_partition_kernelINS1_37wrapped_merge_sort_block_merge_configINS0_14default_configEiN2at4cuda3cub6detail10OpaqueTypeILi1EEEEEPijNS1_19radix_merge_compareILb1ELb0EiNS0_19identity_decomposerEEEEEvT0_T1_jPSH_T2_SH_: ; @_ZN7rocprim17ROCPRIM_304000_NS6detail45device_block_merge_mergepath_partition_kernelINS1_37wrapped_merge_sort_block_merge_configINS0_14default_configEiN2at4cuda3cub6detail10OpaqueTypeILi1EEEEEPijNS1_19radix_merge_compareILb1ELb0EiNS0_19identity_decomposerEEEEEvT0_T1_jPSH_T2_SH_
; %bb.0:
	s_load_b64 s[2:3], s[0:1], 0x8
	v_lshl_or_b32 v0, s15, 7, v0
	s_waitcnt lgkmcnt(0)
	s_delay_alu instid0(VALU_DEP_1)
	v_cmp_gt_u32_e32 vcc_lo, s3, v0
	s_and_saveexec_b32 s3, vcc_lo
	s_cbranch_execz .LBB2_6
; %bb.1:
	s_load_b32 s3, s[0:1], 0x1c
	s_waitcnt lgkmcnt(0)
	s_lshr_b32 s4, s3, 9
	s_delay_alu instid0(SALU_CYCLE_1) | instskip(NEXT) | instid1(SALU_CYCLE_1)
	s_and_b32 s4, s4, 0x7ffffe
	s_sub_i32 s5, 0, s4
	s_add_i32 s4, s4, -1
	v_and_b32_e32 v1, s5, v0
	v_and_b32_e32 v5, s4, v0
	s_delay_alu instid0(VALU_DEP_2) | instskip(NEXT) | instid1(VALU_DEP_1)
	v_lshlrev_b32_e32 v1, 10, v1
	v_add_nc_u32_e32 v2, s3, v1
	s_delay_alu instid0(VALU_DEP_1) | instskip(SKIP_1) | instid1(VALU_DEP_2)
	v_min_u32_e32 v4, s2, v2
	v_min_u32_e32 v2, s2, v1
	v_add_nc_u32_e32 v3, s3, v4
	s_delay_alu instid0(VALU_DEP_1) | instskip(SKIP_2) | instid1(VALU_DEP_2)
	v_min_u32_e32 v1, s2, v3
	v_lshlrev_b32_e32 v3, 10, v5
	s_mov_b32 s2, exec_lo
	v_sub_nc_u32_e32 v5, v1, v2
	v_sub_nc_u32_e32 v6, v1, v4
	s_delay_alu instid0(VALU_DEP_2) | instskip(SKIP_1) | instid1(VALU_DEP_2)
	v_min_u32_e32 v1, v5, v3
	v_sub_nc_u32_e32 v3, v4, v2
	v_sub_nc_u32_e64 v6, v1, v6 clamp
	s_delay_alu instid0(VALU_DEP_2) | instskip(NEXT) | instid1(VALU_DEP_1)
	v_min_u32_e32 v7, v1, v3
	v_cmpx_lt_u32_e64 v6, v7
	s_cbranch_execz .LBB2_5
; %bb.2:
	s_load_b64 s[4:5], s[0:1], 0x0
	v_mov_b32_e32 v5, 0
	s_mov_b32 s3, 0
	s_delay_alu instid0(VALU_DEP_1) | instskip(SKIP_1) | instid1(VALU_DEP_2)
	v_mov_b32_e32 v3, v5
	v_lshlrev_b64 v[10:11], 2, v[4:5]
	v_lshlrev_b64 v[8:9], 2, v[2:3]
	s_waitcnt lgkmcnt(0)
	s_delay_alu instid0(VALU_DEP_1) | instskip(NEXT) | instid1(VALU_DEP_2)
	v_add_co_u32 v3, vcc_lo, s4, v8
	v_add_co_ci_u32_e32 v8, vcc_lo, s5, v9, vcc_lo
	s_delay_alu instid0(VALU_DEP_4)
	v_add_co_u32 v9, vcc_lo, s4, v10
	v_add_co_ci_u32_e32 v10, vcc_lo, s5, v11, vcc_lo
	.p2align	6
.LBB2_3:                                ; =>This Inner Loop Header: Depth=1
	v_add_nc_u32_e32 v4, v7, v6
	s_delay_alu instid0(VALU_DEP_1) | instskip(SKIP_1) | instid1(VALU_DEP_2)
	v_lshrrev_b32_e32 v4, 1, v4
	v_mov_b32_e32 v12, v5
	v_xad_u32 v11, v4, -1, v1
	v_lshlrev_b64 v[13:14], 2, v[4:5]
	s_delay_alu instid0(VALU_DEP_2) | instskip(NEXT) | instid1(VALU_DEP_2)
	v_lshlrev_b64 v[11:12], 2, v[11:12]
	v_add_co_u32 v13, vcc_lo, v3, v13
	s_delay_alu instid0(VALU_DEP_3) | instskip(NEXT) | instid1(VALU_DEP_3)
	v_add_co_ci_u32_e32 v14, vcc_lo, v8, v14, vcc_lo
	v_add_co_u32 v11, vcc_lo, v9, v11
	s_delay_alu instid0(VALU_DEP_4)
	v_add_co_ci_u32_e32 v12, vcc_lo, v10, v12, vcc_lo
	s_clause 0x1
	global_load_b32 v13, v[13:14], off
	global_load_b32 v11, v[11:12], off
	v_add_nc_u32_e32 v12, 1, v4
	s_waitcnt vmcnt(0)
	v_cmp_gt_i32_e32 vcc_lo, v11, v13
	s_delay_alu instid0(VALU_DEP_2) | instskip(NEXT) | instid1(VALU_DEP_1)
	v_dual_cndmask_b32 v7, v7, v4 :: v_dual_cndmask_b32 v6, v12, v6
	v_cmp_ge_u32_e32 vcc_lo, v6, v7
	s_or_b32 s3, vcc_lo, s3
	s_delay_alu instid0(SALU_CYCLE_1)
	s_and_not1_b32 exec_lo, exec_lo, s3
	s_cbranch_execnz .LBB2_3
; %bb.4:
	s_or_b32 exec_lo, exec_lo, s3
.LBB2_5:
	s_delay_alu instid0(SALU_CYCLE_1) | instskip(SKIP_2) | instid1(VALU_DEP_1)
	s_or_b32 exec_lo, exec_lo, s2
	s_load_b64 s[0:1], s[0:1], 0x10
	v_dual_mov_b32 v1, 0 :: v_dual_add_nc_u32 v2, v6, v2
	v_lshlrev_b64 v[0:1], 2, v[0:1]
	s_waitcnt lgkmcnt(0)
	s_delay_alu instid0(VALU_DEP_1) | instskip(NEXT) | instid1(VALU_DEP_2)
	v_add_co_u32 v0, vcc_lo, s0, v0
	v_add_co_ci_u32_e32 v1, vcc_lo, s1, v1, vcc_lo
	global_store_b32 v[0:1], v2, off
.LBB2_6:
	s_nop 0
	s_sendmsg sendmsg(MSG_DEALLOC_VGPRS)
	s_endpgm
	.section	.rodata,"a",@progbits
	.p2align	6, 0x0
	.amdhsa_kernel _ZN7rocprim17ROCPRIM_304000_NS6detail45device_block_merge_mergepath_partition_kernelINS1_37wrapped_merge_sort_block_merge_configINS0_14default_configEiN2at4cuda3cub6detail10OpaqueTypeILi1EEEEEPijNS1_19radix_merge_compareILb1ELb0EiNS0_19identity_decomposerEEEEEvT0_T1_jPSH_T2_SH_
		.amdhsa_group_segment_fixed_size 0
		.amdhsa_private_segment_fixed_size 0
		.amdhsa_kernarg_size 32
		.amdhsa_user_sgpr_count 15
		.amdhsa_user_sgpr_dispatch_ptr 0
		.amdhsa_user_sgpr_queue_ptr 0
		.amdhsa_user_sgpr_kernarg_segment_ptr 1
		.amdhsa_user_sgpr_dispatch_id 0
		.amdhsa_user_sgpr_private_segment_size 0
		.amdhsa_wavefront_size32 1
		.amdhsa_uses_dynamic_stack 0
		.amdhsa_enable_private_segment 0
		.amdhsa_system_sgpr_workgroup_id_x 1
		.amdhsa_system_sgpr_workgroup_id_y 0
		.amdhsa_system_sgpr_workgroup_id_z 0
		.amdhsa_system_sgpr_workgroup_info 0
		.amdhsa_system_vgpr_workitem_id 0
		.amdhsa_next_free_vgpr 15
		.amdhsa_next_free_sgpr 16
		.amdhsa_reserve_vcc 1
		.amdhsa_float_round_mode_32 0
		.amdhsa_float_round_mode_16_64 0
		.amdhsa_float_denorm_mode_32 3
		.amdhsa_float_denorm_mode_16_64 3
		.amdhsa_dx10_clamp 1
		.amdhsa_ieee_mode 1
		.amdhsa_fp16_overflow 0
		.amdhsa_workgroup_processor_mode 1
		.amdhsa_memory_ordered 1
		.amdhsa_forward_progress 0
		.amdhsa_shared_vgpr_count 0
		.amdhsa_exception_fp_ieee_invalid_op 0
		.amdhsa_exception_fp_denorm_src 0
		.amdhsa_exception_fp_ieee_div_zero 0
		.amdhsa_exception_fp_ieee_overflow 0
		.amdhsa_exception_fp_ieee_underflow 0
		.amdhsa_exception_fp_ieee_inexact 0
		.amdhsa_exception_int_div_zero 0
	.end_amdhsa_kernel
	.section	.text._ZN7rocprim17ROCPRIM_304000_NS6detail45device_block_merge_mergepath_partition_kernelINS1_37wrapped_merge_sort_block_merge_configINS0_14default_configEiN2at4cuda3cub6detail10OpaqueTypeILi1EEEEEPijNS1_19radix_merge_compareILb1ELb0EiNS0_19identity_decomposerEEEEEvT0_T1_jPSH_T2_SH_,"axG",@progbits,_ZN7rocprim17ROCPRIM_304000_NS6detail45device_block_merge_mergepath_partition_kernelINS1_37wrapped_merge_sort_block_merge_configINS0_14default_configEiN2at4cuda3cub6detail10OpaqueTypeILi1EEEEEPijNS1_19radix_merge_compareILb1ELb0EiNS0_19identity_decomposerEEEEEvT0_T1_jPSH_T2_SH_,comdat
.Lfunc_end2:
	.size	_ZN7rocprim17ROCPRIM_304000_NS6detail45device_block_merge_mergepath_partition_kernelINS1_37wrapped_merge_sort_block_merge_configINS0_14default_configEiN2at4cuda3cub6detail10OpaqueTypeILi1EEEEEPijNS1_19radix_merge_compareILb1ELb0EiNS0_19identity_decomposerEEEEEvT0_T1_jPSH_T2_SH_, .Lfunc_end2-_ZN7rocprim17ROCPRIM_304000_NS6detail45device_block_merge_mergepath_partition_kernelINS1_37wrapped_merge_sort_block_merge_configINS0_14default_configEiN2at4cuda3cub6detail10OpaqueTypeILi1EEEEEPijNS1_19radix_merge_compareILb1ELb0EiNS0_19identity_decomposerEEEEEvT0_T1_jPSH_T2_SH_
                                        ; -- End function
	.section	.AMDGPU.csdata,"",@progbits
; Kernel info:
; codeLenInByte = 464
; NumSgprs: 18
; NumVgprs: 15
; ScratchSize: 0
; MemoryBound: 0
; FloatMode: 240
; IeeeMode: 1
; LDSByteSize: 0 bytes/workgroup (compile time only)
; SGPRBlocks: 2
; VGPRBlocks: 1
; NumSGPRsForWavesPerEU: 18
; NumVGPRsForWavesPerEU: 15
; Occupancy: 16
; WaveLimiterHint : 0
; COMPUTE_PGM_RSRC2:SCRATCH_EN: 0
; COMPUTE_PGM_RSRC2:USER_SGPR: 15
; COMPUTE_PGM_RSRC2:TRAP_HANDLER: 0
; COMPUTE_PGM_RSRC2:TGID_X_EN: 1
; COMPUTE_PGM_RSRC2:TGID_Y_EN: 0
; COMPUTE_PGM_RSRC2:TGID_Z_EN: 0
; COMPUTE_PGM_RSRC2:TIDIG_COMP_CNT: 0
	.section	.text._ZN7rocprim17ROCPRIM_304000_NS6detail35device_block_merge_mergepath_kernelINS1_37wrapped_merge_sort_block_merge_configINS0_14default_configEiN2at4cuda3cub6detail10OpaqueTypeILi1EEEEEPiSC_PSA_SD_jNS1_19radix_merge_compareILb1ELb0EiNS0_19identity_decomposerEEEEEvT0_T1_T2_T3_T4_SL_jT5_PKSL_NS1_7vsmem_tE,"axG",@progbits,_ZN7rocprim17ROCPRIM_304000_NS6detail35device_block_merge_mergepath_kernelINS1_37wrapped_merge_sort_block_merge_configINS0_14default_configEiN2at4cuda3cub6detail10OpaqueTypeILi1EEEEEPiSC_PSA_SD_jNS1_19radix_merge_compareILb1ELb0EiNS0_19identity_decomposerEEEEEvT0_T1_T2_T3_T4_SL_jT5_PKSL_NS1_7vsmem_tE,comdat
	.protected	_ZN7rocprim17ROCPRIM_304000_NS6detail35device_block_merge_mergepath_kernelINS1_37wrapped_merge_sort_block_merge_configINS0_14default_configEiN2at4cuda3cub6detail10OpaqueTypeILi1EEEEEPiSC_PSA_SD_jNS1_19radix_merge_compareILb1ELb0EiNS0_19identity_decomposerEEEEEvT0_T1_T2_T3_T4_SL_jT5_PKSL_NS1_7vsmem_tE ; -- Begin function _ZN7rocprim17ROCPRIM_304000_NS6detail35device_block_merge_mergepath_kernelINS1_37wrapped_merge_sort_block_merge_configINS0_14default_configEiN2at4cuda3cub6detail10OpaqueTypeILi1EEEEEPiSC_PSA_SD_jNS1_19radix_merge_compareILb1ELb0EiNS0_19identity_decomposerEEEEEvT0_T1_T2_T3_T4_SL_jT5_PKSL_NS1_7vsmem_tE
	.globl	_ZN7rocprim17ROCPRIM_304000_NS6detail35device_block_merge_mergepath_kernelINS1_37wrapped_merge_sort_block_merge_configINS0_14default_configEiN2at4cuda3cub6detail10OpaqueTypeILi1EEEEEPiSC_PSA_SD_jNS1_19radix_merge_compareILb1ELb0EiNS0_19identity_decomposerEEEEEvT0_T1_T2_T3_T4_SL_jT5_PKSL_NS1_7vsmem_tE
	.p2align	8
	.type	_ZN7rocprim17ROCPRIM_304000_NS6detail35device_block_merge_mergepath_kernelINS1_37wrapped_merge_sort_block_merge_configINS0_14default_configEiN2at4cuda3cub6detail10OpaqueTypeILi1EEEEEPiSC_PSA_SD_jNS1_19radix_merge_compareILb1ELb0EiNS0_19identity_decomposerEEEEEvT0_T1_T2_T3_T4_SL_jT5_PKSL_NS1_7vsmem_tE,@function
_ZN7rocprim17ROCPRIM_304000_NS6detail35device_block_merge_mergepath_kernelINS1_37wrapped_merge_sort_block_merge_configINS0_14default_configEiN2at4cuda3cub6detail10OpaqueTypeILi1EEEEEPiSC_PSA_SD_jNS1_19radix_merge_compareILb1ELb0EiNS0_19identity_decomposerEEEEEvT0_T1_T2_T3_T4_SL_jT5_PKSL_NS1_7vsmem_tE: ; @_ZN7rocprim17ROCPRIM_304000_NS6detail35device_block_merge_mergepath_kernelINS1_37wrapped_merge_sort_block_merge_configINS0_14default_configEiN2at4cuda3cub6detail10OpaqueTypeILi1EEEEEPiSC_PSA_SD_jNS1_19radix_merge_compareILb1ELb0EiNS0_19identity_decomposerEEEEEvT0_T1_T2_T3_T4_SL_jT5_PKSL_NS1_7vsmem_tE
; %bb.0:
	s_clause 0x1
	s_load_b64 s[22:23], s[0:1], 0x40
	s_load_b128 s[16:19], s[0:1], 0x20
	s_add_u32 s20, s0, 64
	s_addc_u32 s21, s1, 0
	s_waitcnt lgkmcnt(0)
	s_mul_i32 s2, s23, s15
	s_delay_alu instid0(SALU_CYCLE_1) | instskip(NEXT) | instid1(SALU_CYCLE_1)
	s_add_i32 s2, s2, s14
	s_mul_i32 s2, s2, s22
	s_delay_alu instid0(SALU_CYCLE_1) | instskip(NEXT) | instid1(SALU_CYCLE_1)
	s_add_i32 s2, s2, s13
	s_cmp_ge_u32 s2, s18
	s_cbranch_scc1 .LBB3_69
; %bb.1:
	s_load_b64 s[4:5], s[0:1], 0x30
	s_lshr_b32 s27, s16, 10
	s_mov_b32 s15, 0
	s_cmp_lg_u32 s2, s27
	s_mov_b32 s3, s15
	s_cselect_b32 s23, -1, 0
	s_lshl_b64 s[6:7], s[2:3], 2
	v_mov_b32_e32 v2, 0
	s_mov_b32 s19, s15
	v_lshlrev_b32_e32 v9, 2, v0
	s_waitcnt lgkmcnt(0)
	s_add_u32 s4, s4, s6
	s_addc_u32 s5, s5, s7
	s_lshl_b32 s12, s2, 10
	s_load_b64 s[24:25], s[4:5], 0x0
	s_load_b256 s[4:11], s[0:1], 0x0
	s_lshr_b32 s0, s17, 9
	global_load_b32 v1, v2, s[20:21] offset:14
	s_and_b32 s0, s0, 0x7ffffe
	s_delay_alu instid0(SALU_CYCLE_1) | instskip(NEXT) | instid1(SALU_CYCLE_1)
	s_sub_i32 s0, 0, s0
	s_and_b32 s1, s2, s0
	s_or_b32 s0, s2, s0
	s_lshl_b32 s3, s1, 11
	s_lshl_b32 s1, s1, 10
	s_add_i32 s3, s3, s17
	s_sub_i32 s14, s12, s1
	s_sub_i32 s1, s3, s1
	s_add_i32 s3, s3, s14
	s_min_u32 s26, s16, s1
	s_add_i32 s1, s1, s17
	s_waitcnt lgkmcnt(0)
	s_sub_i32 s14, s3, s24
	s_sub_i32 s3, s3, s25
	s_min_u32 s18, s16, s14
	s_addk_i32 s3, 0x400
	s_cmp_eq_u32 s0, -1
	s_mov_b32 s14, s24
	s_cselect_b32 s3, s1, s3
	s_cselect_b32 s17, s26, s25
	s_min_u32 s3, s3, s16
	s_lshl_b64 s[0:1], s[14:15], 2
	s_sub_i32 s17, s17, s24
	s_sub_i32 s24, s3, s18
	s_add_u32 s25, s4, s0
	s_addc_u32 s26, s5, s1
	s_lshl_b64 s[0:1], s[18:19], 2
	v_cmp_gt_u32_e32 vcc_lo, s17, v0
	s_add_u32 s3, s4, s0
	s_addc_u32 s4, s5, s1
	s_cmp_lt_u32 s13, s22
	s_cselect_b32 s0, 12, 18
	s_delay_alu instid0(SALU_CYCLE_1)
	s_add_u32 s0, s20, s0
	s_addc_u32 s1, s21, 0
	s_cmp_eq_u32 s2, s27
	global_load_u16 v3, v2, s[0:1]
	s_mov_b32 s0, -1
	s_waitcnt vmcnt(1)
	v_lshrrev_b32_e32 v4, 16, v1
	v_and_b32_e32 v1, 0xffff, v1
	s_delay_alu instid0(VALU_DEP_1) | instskip(SKIP_1) | instid1(VALU_DEP_1)
	v_mul_lo_u32 v1, v1, v4
	s_waitcnt vmcnt(0)
	v_mul_lo_u32 v10, v1, v3
	s_delay_alu instid0(VALU_DEP_1) | instskip(NEXT) | instid1(VALU_DEP_1)
	v_add_nc_u32_e32 v7, v10, v0
	v_add_nc_u32_e32 v5, v7, v10
	s_cbranch_scc1 .LBB3_3
; %bb.2:
	v_subrev_nc_u32_e32 v1, s17, v0
	v_add_co_u32 v6, s0, s25, v9
	s_delay_alu instid0(VALU_DEP_1) | instskip(NEXT) | instid1(VALU_DEP_3)
	v_add_co_ci_u32_e64 v13, null, s26, 0, s0
	v_lshlrev_b64 v[3:4], 2, v[1:2]
	v_subrev_nc_u32_e32 v1, s17, v7
	s_add_i32 s5, s24, s17
	s_delay_alu instid0(VALU_DEP_2) | instskip(SKIP_1) | instid1(VALU_DEP_4)
	v_add_co_u32 v15, s0, s3, v3
	v_mov_b32_e32 v8, v2
	v_add_co_ci_u32_e64 v14, s0, s4, v4, s0
	v_lshlrev_b64 v[3:4], 2, v[1:2]
	v_subrev_nc_u32_e32 v1, s17, v5
	s_delay_alu instid0(VALU_DEP_3) | instskip(SKIP_1) | instid1(VALU_DEP_3)
	v_dual_cndmask_b32 v14, v14, v13 :: v_dual_cndmask_b32 v13, v15, v6
	v_lshlrev_b64 v[11:12], 2, v[7:8]
	v_lshlrev_b64 v[15:16], 2, v[1:2]
	v_add_nc_u32_e32 v1, v5, v10
	s_delay_alu instid0(VALU_DEP_3) | instskip(NEXT) | instid1(VALU_DEP_4)
	v_add_co_u32 v8, vcc_lo, s25, v11
	v_add_co_ci_u32_e32 v17, vcc_lo, s26, v12, vcc_lo
	v_add_co_u32 v18, vcc_lo, s3, v3
	s_delay_alu instid0(VALU_DEP_4) | instskip(SKIP_3) | instid1(VALU_DEP_1)
	v_lshlrev_b64 v[11:12], 2, v[1:2]
	v_add_co_ci_u32_e32 v19, vcc_lo, s4, v4, vcc_lo
	v_cmp_gt_u32_e32 vcc_lo, s17, v7
	v_mov_b32_e32 v6, v2
	v_lshlrev_b64 v[3:4], 2, v[5:6]
	v_add_co_u32 v6, s0, s25, v11
	s_delay_alu instid0(VALU_DEP_1)
	v_add_co_ci_u32_e64 v20, s0, s26, v12, s0
	v_cmp_gt_u32_e64 s0, s17, v1
	v_subrev_nc_u32_e32 v1, s17, v1
	v_add_co_u32 v11, s1, s25, v3
	v_cndmask_b32_e32 v3, v19, v17, vcc_lo
	v_add_co_ci_u32_e64 v4, s1, s26, v4, s1
	s_delay_alu instid0(VALU_DEP_4) | instskip(SKIP_1) | instid1(VALU_DEP_1)
	v_lshlrev_b64 v[1:2], 2, v[1:2]
	v_add_co_u32 v15, s1, s3, v15
	v_add_co_ci_u32_e64 v12, s1, s4, v16, s1
	v_cmp_gt_u32_e64 s1, s17, v5
	s_delay_alu instid0(VALU_DEP_4) | instskip(NEXT) | instid1(VALU_DEP_1)
	v_add_co_u32 v1, s2, s3, v1
	v_add_co_ci_u32_e64 v16, s2, s4, v2, s2
	v_cndmask_b32_e32 v2, v18, v8, vcc_lo
	s_delay_alu instid0(VALU_DEP_4) | instskip(SKIP_1) | instid1(VALU_DEP_4)
	v_cndmask_b32_e64 v12, v12, v4, s1
	v_cndmask_b32_e64 v11, v15, v11, s1
	;; [unrolled: 1-line block ×4, first 2 shown]
	global_load_b32 v1, v[13:14], off
	global_load_b32 v2, v[2:3], off
	;; [unrolled: 1-line block ×4, first 2 shown]
	s_mov_b32 s0, s15
	s_delay_alu instid0(SALU_CYCLE_1)
	s_and_not1_b32 vcc_lo, exec_lo, s0
	s_cbranch_vccz .LBB3_4
	s_branch .LBB3_11
.LBB3_3:
                                        ; implicit-def: $vgpr1_vgpr2_vgpr3_vgpr4
                                        ; implicit-def: $sgpr5
	s_and_not1_b32 vcc_lo, exec_lo, s0
	s_cbranch_vccnz .LBB3_11
.LBB3_4:
	s_add_i32 s5, s24, s17
	s_mov_b32 s0, exec_lo
                                        ; implicit-def: $vgpr1_vgpr2_vgpr3_vgpr4
	v_cmpx_gt_u32_e64 s5, v0
	s_cbranch_execnz .LBB3_70
; %bb.5:
	s_or_b32 exec_lo, exec_lo, s0
	s_delay_alu instid0(SALU_CYCLE_1)
	s_mov_b32 s1, exec_lo
	v_cmpx_gt_u32_e64 s5, v7
	s_cbranch_execnz .LBB3_71
.LBB3_6:
	s_or_b32 exec_lo, exec_lo, s1
	s_delay_alu instid0(SALU_CYCLE_1)
	s_mov_b32 s0, exec_lo
	v_cmpx_gt_u32_e64 s5, v5
	s_cbranch_execz .LBB3_8
.LBB3_7:
	v_mov_b32_e32 v6, 0
	v_subrev_nc_u32_e32 v7, s17, v5
	s_delay_alu instid0(VALU_DEP_2) | instskip(SKIP_1) | instid1(VALU_DEP_2)
	v_mov_b32_e32 v8, v6
	v_lshlrev_b64 v[11:12], 2, v[5:6]
	v_lshlrev_b64 v[6:7], 2, v[7:8]
	s_waitcnt vmcnt(1)
	s_delay_alu instid0(VALU_DEP_2) | instskip(NEXT) | instid1(VALU_DEP_3)
	v_add_co_u32 v3, vcc_lo, s25, v11
	v_add_co_ci_u32_e32 v8, vcc_lo, s26, v12, vcc_lo
	s_delay_alu instid0(VALU_DEP_3) | instskip(NEXT) | instid1(VALU_DEP_4)
	v_add_co_u32 v6, vcc_lo, s3, v6
	v_add_co_ci_u32_e32 v7, vcc_lo, s4, v7, vcc_lo
	v_cmp_gt_u32_e32 vcc_lo, s17, v5
	s_delay_alu instid0(VALU_DEP_2)
	v_dual_cndmask_b32 v7, v7, v8 :: v_dual_cndmask_b32 v6, v6, v3
	global_load_b32 v3, v[6:7], off
.LBB3_8:
	s_or_b32 exec_lo, exec_lo, s0
	v_add_nc_u32_e32 v5, v5, v10
	s_mov_b32 s1, exec_lo
	s_delay_alu instid0(VALU_DEP_1)
	v_cmpx_gt_u32_e64 s5, v5
	s_cbranch_execz .LBB3_10
; %bb.9:
	v_mov_b32_e32 v6, 0
	s_delay_alu instid0(VALU_DEP_1) | instskip(NEXT) | instid1(VALU_DEP_1)
	v_lshlrev_b64 v[7:8], 2, v[5:6]
	v_add_co_u32 v7, vcc_lo, s25, v7
	s_delay_alu instid0(VALU_DEP_2) | instskip(SKIP_3) | instid1(VALU_DEP_1)
	v_add_co_ci_u32_e32 v8, vcc_lo, s26, v8, vcc_lo
	v_cmp_gt_u32_e32 vcc_lo, s17, v5
	v_subrev_nc_u32_e32 v5, s17, v5
	s_waitcnt vmcnt(0)
	v_lshlrev_b64 v[4:5], 2, v[5:6]
	s_delay_alu instid0(VALU_DEP_1) | instskip(NEXT) | instid1(VALU_DEP_1)
	v_add_co_u32 v4, s0, s3, v4
	v_add_co_ci_u32_e64 v5, s0, s4, v5, s0
	s_delay_alu instid0(VALU_DEP_1)
	v_dual_cndmask_b32 v4, v4, v7 :: v_dual_cndmask_b32 v5, v5, v8
	global_load_b32 v4, v[4:5], off
.LBB3_10:
	s_or_b32 exec_lo, exec_lo, s1
.LBB3_11:
	v_min_u32_e32 v6, s5, v9
	s_mov_b32 s0, exec_lo
	s_waitcnt vmcnt(0)
	ds_store_2addr_stride64_b32 v9, v1, v2 offset1:4
	ds_store_2addr_stride64_b32 v9, v3, v4 offset0:8 offset1:12
	s_waitcnt lgkmcnt(0)
	s_barrier
	v_sub_nc_u32_e64 v5, v6, s24 clamp
	v_min_u32_e32 v7, s17, v6
	buffer_gl0_inv
	v_cmpx_lt_u32_e64 v5, v7
	s_cbranch_execz .LBB3_15
; %bb.12:
	v_lshlrev_b32_e32 v8, 2, v6
	s_mov_b32 s1, 0
	s_delay_alu instid0(VALU_DEP_1)
	v_lshl_add_u32 v8, s17, 2, v8
	.p2align	6
.LBB3_13:                               ; =>This Inner Loop Header: Depth=1
	v_add_nc_u32_e32 v10, v7, v5
	s_delay_alu instid0(VALU_DEP_1) | instskip(NEXT) | instid1(VALU_DEP_1)
	v_lshrrev_b32_e32 v10, 1, v10
	v_not_b32_e32 v11, v10
	v_add_nc_u32_e32 v13, 1, v10
	v_lshlrev_b32_e32 v12, 2, v10
	s_delay_alu instid0(VALU_DEP_3)
	v_lshl_add_u32 v11, v11, 2, v8
	ds_load_b32 v12, v12
	ds_load_b32 v11, v11
	s_waitcnt lgkmcnt(0)
	v_cmp_gt_i32_e32 vcc_lo, v11, v12
	v_cndmask_b32_e32 v5, v13, v5, vcc_lo
	v_cndmask_b32_e32 v7, v7, v10, vcc_lo
	s_delay_alu instid0(VALU_DEP_1) | instskip(SKIP_1) | instid1(SALU_CYCLE_1)
	v_cmp_ge_u32_e32 vcc_lo, v5, v7
	s_or_b32 s1, vcc_lo, s1
	s_and_not1_b32 exec_lo, exec_lo, s1
	s_cbranch_execnz .LBB3_13
; %bb.14:
	s_or_b32 exec_lo, exec_lo, s1
.LBB3_15:
	s_delay_alu instid0(SALU_CYCLE_1) | instskip(SKIP_2) | instid1(VALU_DEP_2)
	s_or_b32 exec_lo, exec_lo, s0
	v_sub_nc_u32_e32 v6, v6, v5
	v_cmp_ge_u32_e32 vcc_lo, s17, v5
                                        ; implicit-def: $vgpr11
                                        ; implicit-def: $vgpr14
                                        ; implicit-def: $vgpr13
                                        ; implicit-def: $vgpr12
	v_add_nc_u32_e32 v6, s17, v6
	s_delay_alu instid0(VALU_DEP_1) | instskip(NEXT) | instid1(VALU_DEP_1)
	v_cmp_ge_u32_e64 s0, s5, v6
	s_or_b32 s0, vcc_lo, s0
	s_delay_alu instid0(SALU_CYCLE_1)
	s_and_saveexec_b32 s13, s0
	s_cbranch_execz .LBB3_21
; %bb.16:
	v_cmp_gt_u32_e32 vcc_lo, s17, v5
                                        ; implicit-def: $vgpr1
	s_and_saveexec_b32 s0, vcc_lo
	s_cbranch_execz .LBB3_18
; %bb.17:
	v_lshlrev_b32_e32 v1, 2, v5
	ds_load_b32 v1, v1
.LBB3_18:
	s_or_b32 exec_lo, exec_lo, s0
	v_cmp_le_u32_e64 s0, s5, v6
	s_mov_b32 s2, exec_lo
                                        ; implicit-def: $vgpr2
	v_cmpx_gt_u32_e64 s5, v6
	s_cbranch_execz .LBB3_20
; %bb.19:
	v_lshlrev_b32_e32 v2, 2, v6
	ds_load_b32 v2, v2
.LBB3_20:
	s_or_b32 exec_lo, exec_lo, s2
	s_waitcnt lgkmcnt(0)
	v_cmp_le_i32_e64 s1, v2, v1
	s_delay_alu instid0(VALU_DEP_1) | instskip(NEXT) | instid1(SALU_CYCLE_1)
	s_and_b32 s1, vcc_lo, s1
	s_or_b32 vcc_lo, s0, s1
	v_dual_mov_b32 v3, s17 :: v_dual_cndmask_b32 v12, v6, v5
	s_delay_alu instid0(VALU_DEP_1) | instskip(NEXT) | instid1(VALU_DEP_1)
	v_dual_cndmask_b32 v4, s5, v3 :: v_dual_add_nc_u32 v7, 1, v12
	v_dual_cndmask_b32 v5, v5, v7 :: v_dual_add_nc_u32 v4, -1, v4
	v_cndmask_b32_e32 v6, v7, v6, vcc_lo
	s_delay_alu instid0(VALU_DEP_2) | instskip(NEXT) | instid1(VALU_DEP_3)
	v_min_u32_e32 v4, v7, v4
	v_cmp_gt_u32_e64 s0, s17, v5
	s_delay_alu instid0(VALU_DEP_3) | instskip(NEXT) | instid1(VALU_DEP_3)
	v_cmp_le_u32_e64 s2, s5, v6
	v_lshlrev_b32_e32 v4, 2, v4
	ds_load_b32 v4, v4
	s_waitcnt lgkmcnt(0)
	v_cndmask_b32_e32 v8, v4, v2, vcc_lo
	v_dual_cndmask_b32 v4, v1, v4 :: v_dual_cndmask_b32 v1, v2, v1
	s_delay_alu instid0(VALU_DEP_1) | instskip(NEXT) | instid1(VALU_DEP_1)
	v_cmp_le_i32_e64 s1, v8, v4
	s_and_b32 s0, s0, s1
	s_delay_alu instid0(SALU_CYCLE_1) | instskip(NEXT) | instid1(SALU_CYCLE_1)
	s_or_b32 s0, s2, s0
	v_cndmask_b32_e64 v13, v6, v5, s0
	v_cndmask_b32_e64 v7, s5, v3, s0
	s_delay_alu instid0(VALU_DEP_2) | instskip(NEXT) | instid1(VALU_DEP_2)
	v_add_nc_u32_e32 v10, 1, v13
	v_add_nc_u32_e32 v7, -1, v7
	s_delay_alu instid0(VALU_DEP_2) | instskip(NEXT) | instid1(VALU_DEP_2)
	v_cndmask_b32_e64 v5, v5, v10, s0
	v_min_u32_e32 v7, v10, v7
	v_cndmask_b32_e64 v6, v10, v6, s0
	s_delay_alu instid0(VALU_DEP_3) | instskip(NEXT) | instid1(VALU_DEP_3)
	v_cmp_gt_u32_e64 s1, s17, v5
	v_lshlrev_b32_e32 v7, 2, v7
	s_delay_alu instid0(VALU_DEP_3)
	v_cmp_le_u32_e64 s3, s5, v6
	v_cndmask_b32_e64 v2, v8, v4, s0
	ds_load_b32 v7, v7
	s_waitcnt lgkmcnt(0)
	v_cndmask_b32_e64 v11, v7, v8, s0
	v_cndmask_b32_e64 v7, v4, v7, s0
	s_delay_alu instid0(VALU_DEP_1) | instskip(NEXT) | instid1(VALU_DEP_1)
	v_cmp_le_i32_e64 s2, v11, v7
	s_and_b32 s1, s1, s2
	s_delay_alu instid0(SALU_CYCLE_1) | instskip(NEXT) | instid1(SALU_CYCLE_1)
	s_or_b32 s1, s3, s1
	v_cndmask_b32_e64 v14, v6, v5, s1
	v_cndmask_b32_e64 v3, s5, v3, s1
	s_delay_alu instid0(VALU_DEP_2) | instskip(NEXT) | instid1(VALU_DEP_2)
	v_add_nc_u32_e32 v10, 1, v14
	v_add_nc_u32_e32 v3, -1, v3
	s_delay_alu instid0(VALU_DEP_2) | instskip(NEXT) | instid1(VALU_DEP_2)
	v_cndmask_b32_e64 v5, v5, v10, s1
	v_min_u32_e32 v3, v10, v3
	v_cndmask_b32_e64 v6, v10, v6, s1
	s_delay_alu instid0(VALU_DEP_3) | instskip(NEXT) | instid1(VALU_DEP_3)
	v_cmp_gt_u32_e64 s2, s17, v5
	v_lshlrev_b32_e32 v3, 2, v3
	s_delay_alu instid0(VALU_DEP_3)
	v_cmp_le_u32_e64 s4, s5, v6
	ds_load_b32 v3, v3
	s_waitcnt lgkmcnt(0)
	v_cndmask_b32_e64 v15, v3, v11, s1
	v_cndmask_b32_e64 v16, v7, v3, s1
	;; [unrolled: 1-line block ×3, first 2 shown]
	s_delay_alu instid0(VALU_DEP_2) | instskip(NEXT) | instid1(VALU_DEP_1)
	v_cmp_le_i32_e64 s3, v15, v16
	s_and_b32 s0, s2, s3
	s_delay_alu instid0(SALU_CYCLE_1)
	s_or_b32 vcc_lo, s4, s0
	v_dual_cndmask_b32 v4, v15, v16 :: v_dual_cndmask_b32 v11, v6, v5
.LBB3_21:
	s_or_b32 exec_lo, exec_lo, s13
	s_add_u32 s3, s8, s14
	v_cmp_gt_u32_e64 s1, s17, v0
	v_cmp_le_u32_e64 s0, s17, v0
	v_or_b32_e32 v10, 0x100, v0
	v_or_b32_e32 v8, 0x200, v0
	;; [unrolled: 1-line block ×3, first 2 shown]
	s_addc_u32 s4, s9, 0
	s_add_u32 s13, s8, s18
	s_mov_b32 s2, 0
	s_addc_u32 s20, s9, 0
	s_and_not1_b32 vcc_lo, exec_lo, s23
	s_barrier
	buffer_gl0_inv
	s_cbranch_vccnz .LBB3_23
; %bb.22:
	v_subrev_nc_u32_e32 v5, s17, v0
	v_or_b32_e32 v15, 0x100, v0
	v_or_b32_e32 v21, 0x200, v0
	s_delay_alu instid0(VALU_DEP_3) | instskip(NEXT) | instid1(VALU_DEP_1)
	v_add_co_u32 v5, s2, s13, v5
	v_add_co_ci_u32_e64 v6, null, s20, 0, s2
	v_add_co_u32 v19, s2, s3, v0
	s_delay_alu instid0(VALU_DEP_1) | instskip(SKIP_1) | instid1(VALU_DEP_3)
	v_add_co_ci_u32_e64 v20, null, s4, 0, s2
	v_subrev_nc_u32_e32 v16, s17, v15
	v_add_co_u32 v17, vcc_lo, 0x100, v19
	s_delay_alu instid0(VALU_DEP_3) | instskip(NEXT) | instid1(VALU_DEP_3)
	v_add_co_ci_u32_e32 v18, vcc_lo, 0, v20, vcc_lo
	v_add_co_u32 v22, s2, s13, v16
	v_cmp_gt_u32_e32 vcc_lo, s17, v15
	v_subrev_nc_u32_e32 v15, s17, v21
	v_add_co_ci_u32_e64 v16, null, s20, 0, s2
	v_add_co_u32 v23, s2, 0x200, v19
	s_delay_alu instid0(VALU_DEP_1) | instskip(NEXT) | instid1(VALU_DEP_4)
	v_add_co_ci_u32_e64 v24, s2, 0, v20, s2
	v_add_co_u32 v25, s2, s13, v15
	s_delay_alu instid0(VALU_DEP_1) | instskip(SKIP_4) | instid1(VALU_DEP_4)
	v_add_co_ci_u32_e64 v26, null, s20, 0, s2
	v_cmp_gt_u32_e64 s2, s17, v21
	v_cndmask_b32_e64 v6, v6, v20, s1
	v_cndmask_b32_e64 v5, v5, v19, s1
	v_dual_cndmask_b32 v16, v16, v18 :: v_dual_cndmask_b32 v15, v22, v17
	v_cndmask_b32_e64 v18, v26, v24, s2
	v_cndmask_b32_e64 v17, v25, v23, s2
	global_load_u8 v21, v[5:6], off
	global_load_u8 v16, v[15:16], off
	;; [unrolled: 1-line block ×3, first 2 shown]
	v_or_b32_e32 v15, 0x300, v0
	v_add_co_u32 v18, vcc_lo, 0x300, v19
	v_add_co_ci_u32_e32 v6, vcc_lo, 0, v20, vcc_lo
	s_delay_alu instid0(VALU_DEP_3)
	v_subrev_nc_u32_e32 v5, s17, v15
	v_cmp_gt_u32_e32 vcc_lo, s17, v15
	s_mov_b32 s2, -1
	s_waitcnt vmcnt(2)
	ds_store_b8 v0, v21
	s_waitcnt vmcnt(1)
	ds_store_b8 v0, v16 offset:256
	s_waitcnt vmcnt(0)
	ds_store_b8 v0, v17 offset:512
	v_add_co_u32 v5, s1, s13, v5
	s_delay_alu instid0(VALU_DEP_1) | instskip(NEXT) | instid1(VALU_DEP_2)
	v_add_co_ci_u32_e64 v19, null, s20, 0, s1
	v_cndmask_b32_e32 v5, v5, v18, vcc_lo
	s_delay_alu instid0(VALU_DEP_2)
	v_cndmask_b32_e32 v6, v19, v6, vcc_lo
	s_cbranch_execz .LBB3_24
	s_branch .LBB3_43
.LBB3_23:
                                        ; implicit-def: $vgpr15
                                        ; implicit-def: $vgpr5_vgpr6
.LBB3_24:
	s_mov_b32 s1, 0
                                        ; implicit-def: $vgpr5_vgpr6
	s_and_saveexec_b32 s21, s0
	s_delay_alu instid0(SALU_CYCLE_1)
	s_xor_b32 s0, exec_lo, s21
	s_cbranch_execnz .LBB3_72
; %bb.25:
	s_and_not1_saveexec_b32 s0, s0
	s_cbranch_execnz .LBB3_75
.LBB3_26:
	s_or_b32 exec_lo, exec_lo, s0
	s_and_saveexec_b32 s0, s1
	s_cbranch_execz .LBB3_28
.LBB3_27:
	global_load_u8 v5, v[5:6], off
	s_waitcnt vmcnt(0)
	ds_store_b8 v0, v5
.LBB3_28:
	s_or_b32 exec_lo, exec_lo, s0
	v_dual_mov_b32 v5, s14 :: v_dual_mov_b32 v6, s15
	v_mov_b32_e32 v15, v10
	s_mov_b32 s0, -1
	s_mov_b32 s1, exec_lo
	v_cmpx_le_u32_e64 s17, v10
; %bb.29:
	v_subrev_nc_u32_e32 v15, s17, v10
	v_dual_mov_b32 v5, s18 :: v_dual_mov_b32 v6, s19
	s_delay_alu instid0(VALU_DEP_2)
	v_cmp_gt_u32_e32 vcc_lo, s24, v15
	s_or_not1_b32 s0, vcc_lo, exec_lo
; %bb.30:
	s_or_b32 exec_lo, exec_lo, s1
	s_and_saveexec_b32 s1, s0
	s_cbranch_execz .LBB3_32
; %bb.31:
	v_add_co_u32 v5, vcc_lo, s8, v5
	v_add_co_ci_u32_e32 v6, vcc_lo, s9, v6, vcc_lo
	s_delay_alu instid0(VALU_DEP_2) | instskip(NEXT) | instid1(VALU_DEP_2)
	v_add_co_u32 v5, vcc_lo, v5, v15
	v_add_co_ci_u32_e32 v6, vcc_lo, 0, v6, vcc_lo
	global_load_u8 v5, v[5:6], off
	s_waitcnt vmcnt(0)
	ds_store_b8 v0, v5 offset:256
.LBB3_32:
	s_or_b32 exec_lo, exec_lo, s1
	v_dual_mov_b32 v5, s14 :: v_dual_mov_b32 v6, s15
	v_mov_b32_e32 v15, v8
	s_mov_b32 s0, -1
	s_mov_b32 s1, exec_lo
	v_cmpx_le_u32_e64 s17, v8
; %bb.33:
	v_subrev_nc_u32_e32 v15, s17, v8
	v_dual_mov_b32 v5, s18 :: v_dual_mov_b32 v6, s19
	s_delay_alu instid0(VALU_DEP_2)
	v_cmp_gt_u32_e32 vcc_lo, s24, v15
	s_or_not1_b32 s0, vcc_lo, exec_lo
; %bb.34:
	s_or_b32 exec_lo, exec_lo, s1
	s_and_saveexec_b32 s1, s0
	s_cbranch_execz .LBB3_36
; %bb.35:
	v_add_co_u32 v5, vcc_lo, s8, v5
	v_add_co_ci_u32_e32 v6, vcc_lo, s9, v6, vcc_lo
	s_delay_alu instid0(VALU_DEP_2) | instskip(NEXT) | instid1(VALU_DEP_2)
	v_add_co_u32 v5, vcc_lo, v5, v15
	v_add_co_ci_u32_e32 v6, vcc_lo, 0, v6, vcc_lo
	global_load_u8 v5, v[5:6], off
	s_waitcnt vmcnt(0)
	ds_store_b8 v0, v5 offset:512
.LBB3_36:
	s_or_b32 exec_lo, exec_lo, s1
	s_delay_alu instid0(SALU_CYCLE_1)
	s_mov_b32 s0, exec_lo
                                        ; implicit-def: $vgpr15
                                        ; implicit-def: $vgpr5_vgpr6
	v_cmpx_le_u32_e64 s17, v7
	s_xor_b32 s0, exec_lo, s0
	s_cbranch_execz .LBB3_40
; %bb.37:
	v_subrev_nc_u32_e32 v16, s17, v7
	s_mov_b32 s1, s2
	s_mov_b32 s8, exec_lo
                                        ; implicit-def: $vgpr15
                                        ; implicit-def: $vgpr5_vgpr6
	s_delay_alu instid0(VALU_DEP_1)
	v_cmpx_gt_u32_e64 s24, v16
; %bb.38:
	v_add_co_u32 v5, s1, s13, v16
	v_or_b32_e32 v15, 0x300, v0
	v_add_co_ci_u32_e64 v6, null, s20, 0, s1
	s_or_b32 s1, s2, exec_lo
; %bb.39:
	s_or_b32 exec_lo, exec_lo, s8
	s_delay_alu instid0(SALU_CYCLE_1) | instskip(SKIP_1) | instid1(SALU_CYCLE_1)
	s_and_not1_b32 s2, s2, exec_lo
	s_and_b32 s1, s1, exec_lo
	s_or_b32 s2, s2, s1
.LBB3_40:
	s_and_not1_saveexec_b32 s0, s0
; %bb.41:
	v_add_co_u32 v5, s1, s3, v0
	s_delay_alu instid0(VALU_DEP_1) | instskip(SKIP_1) | instid1(VALU_DEP_3)
	v_add_co_ci_u32_e64 v6, null, s4, 0, s1
	v_mov_b32_e32 v15, v7
	v_add_co_u32 v5, vcc_lo, 0x300, v5
	s_delay_alu instid0(VALU_DEP_3)
	v_add_co_ci_u32_e32 v6, vcc_lo, 0, v6, vcc_lo
	s_or_b32 s2, s2, exec_lo
; %bb.42:
	s_or_b32 exec_lo, exec_lo, s0
.LBB3_43:
	s_and_saveexec_b32 s0, s2
	s_cbranch_execz .LBB3_45
; %bb.44:
	global_load_u8 v5, v[5:6], off
	s_waitcnt vmcnt(0)
	ds_store_b8 v15, v5
.LBB3_45:
	s_or_b32 exec_lo, exec_lo, s0
	v_add_nc_u32_e32 v15, s12, v9
	s_and_not1_b32 vcc_lo, exec_lo, s23
	s_waitcnt lgkmcnt(0)
	s_barrier
	buffer_gl0_inv
	s_cbranch_vccnz .LBB3_47
; %bb.46:
	ds_load_u8 v5, v13
	ds_load_u8 v6, v12
	;; [unrolled: 1-line block ×3, first 2 shown]
	s_mov_b32 s0, -1
	s_waitcnt lgkmcnt(2)
	v_lshlrev_b16 v5, 8, v5
	s_waitcnt lgkmcnt(1)
	s_delay_alu instid0(VALU_DEP_1)
	v_or_b32_e32 v5, v6, v5
	v_mov_b32_e32 v6, 0
	s_waitcnt lgkmcnt(0)
	s_clause 0x1
	global_store_b8 v15, v16, s[10:11] offset:2
	global_store_b16 v15, v5, s[10:11]
	s_cbranch_execz .LBB3_48
	s_branch .LBB3_57
.LBB3_47:
	s_mov_b32 s0, 0
                                        ; implicit-def: $vgpr5_vgpr6
.LBB3_48:
	s_mov_b32 s1, exec_lo
	v_cmpx_gt_u32_e64 s5, v9
	s_cbranch_execz .LBB3_50
; %bb.49:
	ds_load_u8 v5, v12
	s_waitcnt lgkmcnt(0)
	global_store_b8 v15, v5, s[10:11]
.LBB3_50:
	s_or_b32 exec_lo, exec_lo, s1
	v_or_b32_e32 v5, 1, v9
	s_mov_b32 s1, exec_lo
	s_delay_alu instid0(VALU_DEP_1)
	v_cmpx_gt_u32_e64 s5, v5
	s_cbranch_execz .LBB3_52
; %bb.51:
	ds_load_u8 v5, v13
	s_waitcnt lgkmcnt(0)
	global_store_b8 v15, v5, s[10:11] offset:1
.LBB3_52:
	s_or_b32 exec_lo, exec_lo, s1
	v_or_b32_e32 v5, 2, v9
	s_mov_b32 s1, exec_lo
	s_delay_alu instid0(VALU_DEP_1)
	v_cmpx_gt_u32_e64 s5, v5
	s_cbranch_execz .LBB3_54
; %bb.53:
	ds_load_u8 v5, v14
	s_waitcnt lgkmcnt(0)
	global_store_b8 v15, v5, s[10:11] offset:2
.LBB3_54:
	s_or_b32 exec_lo, exec_lo, s1
	v_or_b32_e32 v5, 3, v9
	s_mov_b32 s1, exec_lo
	s_delay_alu instid0(VALU_DEP_1)
	v_cmpx_gt_u32_e64 s5, v5
                                        ; implicit-def: $vgpr5_vgpr6
; %bb.55:
	v_mov_b32_e32 v6, 0
	s_or_b32 s0, s0, exec_lo
; %bb.56:
	s_or_b32 exec_lo, exec_lo, s1
.LBB3_57:
	s_and_saveexec_b32 s1, s0
	s_cbranch_execz .LBB3_59
; %bb.58:
	ds_load_u8 v11, v11
	v_add_co_u32 v5, vcc_lo, s10, v15
	v_add_co_ci_u32_e32 v6, vcc_lo, s11, v6, vcc_lo
	s_waitcnt lgkmcnt(0)
	global_store_b8 v[5:6], v11, off offset:3
.LBB3_59:
	s_or_b32 exec_lo, exec_lo, s1
	v_lshrrev_b32_e32 v5, 3, v0
	v_lshlrev_b32_e32 v6, 2, v9
	v_lshrrev_b32_e32 v11, 3, v10
	v_lshrrev_b32_e32 v12, 3, v8
	;; [unrolled: 1-line block ×3, first 2 shown]
	s_mov_b32 s13, 0
	v_lshl_add_u32 v6, v5, 2, v6
	s_lshl_b64 s[0:1], s[12:13], 2
	v_and_b32_e32 v5, 28, v5
	v_and_b32_e32 v11, 60, v11
	;; [unrolled: 1-line block ×4, first 2 shown]
	s_add_u32 s0, s6, s0
	s_waitcnt_vscnt null, 0x0
	s_barrier
	buffer_gl0_inv
	s_barrier
	buffer_gl0_inv
	s_addc_u32 s1, s7, s1
	ds_store_2addr_b32 v6, v1, v2 offset1:1
	ds_store_2addr_b32 v6, v3, v4 offset0:2 offset1:3
	v_add_co_u32 v1, s0, s0, v9
	v_add_nc_u32_e32 v4, v9, v5
	v_add_nc_u32_e32 v5, v9, v11
	;; [unrolled: 1-line block ×4, first 2 shown]
	v_add_co_ci_u32_e64 v2, null, s1, 0, s0
	s_and_b32 vcc_lo, exec_lo, s23
	s_waitcnt lgkmcnt(0)
	s_cbranch_vccz .LBB3_61
; %bb.60:
	s_barrier
	buffer_gl0_inv
	ds_load_b32 v9, v4
	ds_load_b32 v12, v5 offset:1024
	ds_load_b32 v13, v6 offset:2048
	;; [unrolled: 1-line block ×3, first 2 shown]
	s_mov_b32 s13, -1
	s_waitcnt lgkmcnt(3)
	global_store_b32 v[1:2], v9, off
	s_waitcnt lgkmcnt(2)
	global_store_b32 v[1:2], v12, off offset:1024
	s_waitcnt lgkmcnt(1)
	global_store_b32 v[1:2], v13, off offset:2048
	s_cbranch_execz .LBB3_62
	s_branch .LBB3_67
.LBB3_61:
                                        ; implicit-def: $vgpr3
.LBB3_62:
	s_waitcnt lgkmcnt(0)
	s_waitcnt_vscnt null, 0x0
	s_barrier
	buffer_gl0_inv
	ds_load_b32 v9, v5 offset:1024
	ds_load_b32 v5, v6 offset:2048
	;; [unrolled: 1-line block ×3, first 2 shown]
	s_sub_i32 s0, s16, s12
	s_mov_b32 s1, exec_lo
	v_cmpx_gt_u32_e64 s0, v0
	s_cbranch_execnz .LBB3_76
; %bb.63:
	s_or_b32 exec_lo, exec_lo, s1
	s_delay_alu instid0(SALU_CYCLE_1)
	s_mov_b32 s1, exec_lo
	v_cmpx_gt_u32_e64 s0, v10
	s_cbranch_execnz .LBB3_77
.LBB3_64:
	s_or_b32 exec_lo, exec_lo, s1
	s_delay_alu instid0(SALU_CYCLE_1)
	s_mov_b32 s1, exec_lo
	v_cmpx_gt_u32_e64 s0, v8
	s_cbranch_execz .LBB3_66
.LBB3_65:
	s_waitcnt lgkmcnt(1)
	global_store_b32 v[1:2], v5, off offset:2048
.LBB3_66:
	s_or_b32 exec_lo, exec_lo, s1
	v_cmp_gt_u32_e64 s13, s0, v7
.LBB3_67:
	s_delay_alu instid0(VALU_DEP_1)
	s_and_saveexec_b32 s0, s13
	s_cbranch_execz .LBB3_69
; %bb.68:
	s_waitcnt lgkmcnt(0)
	global_store_b32 v[1:2], v3, off offset:3072
.LBB3_69:
	s_nop 0
	s_sendmsg sendmsg(MSG_DEALLOC_VGPRS)
	s_endpgm
.LBB3_70:
	s_waitcnt vmcnt(3)
	v_subrev_nc_u32_e32 v1, s17, v0
	s_waitcnt vmcnt(1)
	v_add_co_u32 v3, s1, s25, v9
	v_mov_b32_e32 v2, 0
	s_waitcnt vmcnt(0)
	v_add_co_ci_u32_e64 v4, null, s26, 0, s1
	s_delay_alu instid0(VALU_DEP_2) | instskip(NEXT) | instid1(VALU_DEP_1)
	v_lshlrev_b64 v[1:2], 2, v[1:2]
	v_add_co_u32 v1, vcc_lo, s3, v1
	s_delay_alu instid0(VALU_DEP_2) | instskip(SKIP_1) | instid1(VALU_DEP_2)
	v_add_co_ci_u32_e32 v2, vcc_lo, s4, v2, vcc_lo
	v_cmp_gt_u32_e32 vcc_lo, s17, v0
	v_dual_cndmask_b32 v1, v1, v3 :: v_dual_cndmask_b32 v2, v2, v4
	global_load_b32 v1, v[1:2], off
	s_or_b32 exec_lo, exec_lo, s0
	s_delay_alu instid0(SALU_CYCLE_1)
	s_mov_b32 s1, exec_lo
	v_cmpx_gt_u32_e64 s5, v7
	s_cbranch_execz .LBB3_6
.LBB3_71:
	v_mov_b32_e32 v8, 0
	s_delay_alu instid0(VALU_DEP_1) | instskip(SKIP_1) | instid1(VALU_DEP_1)
	v_lshlrev_b64 v[11:12], 2, v[7:8]
	s_waitcnt vmcnt(2)
	v_add_co_u32 v2, vcc_lo, s25, v11
	s_delay_alu instid0(VALU_DEP_2) | instskip(SKIP_2) | instid1(VALU_DEP_1)
	v_add_co_ci_u32_e32 v11, vcc_lo, s26, v12, vcc_lo
	v_cmp_gt_u32_e32 vcc_lo, s17, v7
	v_subrev_nc_u32_e32 v7, s17, v7
	v_lshlrev_b64 v[6:7], 2, v[7:8]
	s_delay_alu instid0(VALU_DEP_1) | instskip(NEXT) | instid1(VALU_DEP_1)
	v_add_co_u32 v6, s0, s3, v6
	v_add_co_ci_u32_e64 v7, s0, s4, v7, s0
	s_delay_alu instid0(VALU_DEP_1) | instskip(SKIP_2) | instid1(SALU_CYCLE_1)
	v_dual_cndmask_b32 v6, v6, v2 :: v_dual_cndmask_b32 v7, v7, v11
	global_load_b32 v2, v[6:7], off
	s_or_b32 exec_lo, exec_lo, s1
	s_mov_b32 s0, exec_lo
	v_cmpx_gt_u32_e64 s5, v5
	s_cbranch_execnz .LBB3_7
	s_branch .LBB3_8
.LBB3_72:
	v_subrev_nc_u32_e32 v15, s17, v0
	s_mov_b32 s21, exec_lo
                                        ; implicit-def: $vgpr5_vgpr6
	s_delay_alu instid0(VALU_DEP_1)
	v_cmpx_gt_u32_e64 s24, v15
	s_xor_b32 s21, exec_lo, s21
; %bb.73:
	v_add_co_u32 v5, s22, s13, v15
	s_mov_b32 s1, exec_lo
	v_add_co_ci_u32_e64 v6, null, s20, 0, s22
; %bb.74:
	s_or_b32 exec_lo, exec_lo, s21
	s_delay_alu instid0(SALU_CYCLE_1)
	s_and_b32 s1, s1, exec_lo
	s_and_not1_saveexec_b32 s0, s0
	s_cbranch_execz .LBB3_26
.LBB3_75:
	v_add_co_u32 v5, s21, s3, v0
	s_delay_alu instid0(VALU_DEP_1)
	v_add_co_ci_u32_e64 v6, null, s4, 0, s21
	s_or_b32 s1, s1, exec_lo
	s_or_b32 exec_lo, exec_lo, s0
	s_and_saveexec_b32 s0, s1
	s_cbranch_execnz .LBB3_27
	s_branch .LBB3_28
.LBB3_76:
	ds_load_b32 v0, v4
	s_waitcnt lgkmcnt(0)
	global_store_b32 v[1:2], v0, off
	s_or_b32 exec_lo, exec_lo, s1
	s_delay_alu instid0(SALU_CYCLE_1)
	s_mov_b32 s1, exec_lo
	v_cmpx_gt_u32_e64 s0, v10
	s_cbranch_execz .LBB3_64
.LBB3_77:
	s_waitcnt lgkmcnt(2)
	global_store_b32 v[1:2], v9, off offset:1024
	s_or_b32 exec_lo, exec_lo, s1
	s_delay_alu instid0(SALU_CYCLE_1)
	s_mov_b32 s1, exec_lo
	v_cmpx_gt_u32_e64 s0, v8
	s_cbranch_execnz .LBB3_65
	s_branch .LBB3_66
	.section	.rodata,"a",@progbits
	.p2align	6, 0x0
	.amdhsa_kernel _ZN7rocprim17ROCPRIM_304000_NS6detail35device_block_merge_mergepath_kernelINS1_37wrapped_merge_sort_block_merge_configINS0_14default_configEiN2at4cuda3cub6detail10OpaqueTypeILi1EEEEEPiSC_PSA_SD_jNS1_19radix_merge_compareILb1ELb0EiNS0_19identity_decomposerEEEEEvT0_T1_T2_T3_T4_SL_jT5_PKSL_NS1_7vsmem_tE
		.amdhsa_group_segment_fixed_size 4224
		.amdhsa_private_segment_fixed_size 0
		.amdhsa_kernarg_size 320
		.amdhsa_user_sgpr_count 13
		.amdhsa_user_sgpr_dispatch_ptr 0
		.amdhsa_user_sgpr_queue_ptr 0
		.amdhsa_user_sgpr_kernarg_segment_ptr 1
		.amdhsa_user_sgpr_dispatch_id 0
		.amdhsa_user_sgpr_private_segment_size 0
		.amdhsa_wavefront_size32 1
		.amdhsa_uses_dynamic_stack 0
		.amdhsa_enable_private_segment 0
		.amdhsa_system_sgpr_workgroup_id_x 1
		.amdhsa_system_sgpr_workgroup_id_y 1
		.amdhsa_system_sgpr_workgroup_id_z 1
		.amdhsa_system_sgpr_workgroup_info 0
		.amdhsa_system_vgpr_workitem_id 0
		.amdhsa_next_free_vgpr 27
		.amdhsa_next_free_sgpr 28
		.amdhsa_reserve_vcc 1
		.amdhsa_float_round_mode_32 0
		.amdhsa_float_round_mode_16_64 0
		.amdhsa_float_denorm_mode_32 3
		.amdhsa_float_denorm_mode_16_64 3
		.amdhsa_dx10_clamp 1
		.amdhsa_ieee_mode 1
		.amdhsa_fp16_overflow 0
		.amdhsa_workgroup_processor_mode 1
		.amdhsa_memory_ordered 1
		.amdhsa_forward_progress 0
		.amdhsa_shared_vgpr_count 0
		.amdhsa_exception_fp_ieee_invalid_op 0
		.amdhsa_exception_fp_denorm_src 0
		.amdhsa_exception_fp_ieee_div_zero 0
		.amdhsa_exception_fp_ieee_overflow 0
		.amdhsa_exception_fp_ieee_underflow 0
		.amdhsa_exception_fp_ieee_inexact 0
		.amdhsa_exception_int_div_zero 0
	.end_amdhsa_kernel
	.section	.text._ZN7rocprim17ROCPRIM_304000_NS6detail35device_block_merge_mergepath_kernelINS1_37wrapped_merge_sort_block_merge_configINS0_14default_configEiN2at4cuda3cub6detail10OpaqueTypeILi1EEEEEPiSC_PSA_SD_jNS1_19radix_merge_compareILb1ELb0EiNS0_19identity_decomposerEEEEEvT0_T1_T2_T3_T4_SL_jT5_PKSL_NS1_7vsmem_tE,"axG",@progbits,_ZN7rocprim17ROCPRIM_304000_NS6detail35device_block_merge_mergepath_kernelINS1_37wrapped_merge_sort_block_merge_configINS0_14default_configEiN2at4cuda3cub6detail10OpaqueTypeILi1EEEEEPiSC_PSA_SD_jNS1_19radix_merge_compareILb1ELb0EiNS0_19identity_decomposerEEEEEvT0_T1_T2_T3_T4_SL_jT5_PKSL_NS1_7vsmem_tE,comdat
.Lfunc_end3:
	.size	_ZN7rocprim17ROCPRIM_304000_NS6detail35device_block_merge_mergepath_kernelINS1_37wrapped_merge_sort_block_merge_configINS0_14default_configEiN2at4cuda3cub6detail10OpaqueTypeILi1EEEEEPiSC_PSA_SD_jNS1_19radix_merge_compareILb1ELb0EiNS0_19identity_decomposerEEEEEvT0_T1_T2_T3_T4_SL_jT5_PKSL_NS1_7vsmem_tE, .Lfunc_end3-_ZN7rocprim17ROCPRIM_304000_NS6detail35device_block_merge_mergepath_kernelINS1_37wrapped_merge_sort_block_merge_configINS0_14default_configEiN2at4cuda3cub6detail10OpaqueTypeILi1EEEEEPiSC_PSA_SD_jNS1_19radix_merge_compareILb1ELb0EiNS0_19identity_decomposerEEEEEvT0_T1_T2_T3_T4_SL_jT5_PKSL_NS1_7vsmem_tE
                                        ; -- End function
	.section	.AMDGPU.csdata,"",@progbits
; Kernel info:
; codeLenInByte = 3820
; NumSgprs: 30
; NumVgprs: 27
; ScratchSize: 0
; MemoryBound: 0
; FloatMode: 240
; IeeeMode: 1
; LDSByteSize: 4224 bytes/workgroup (compile time only)
; SGPRBlocks: 3
; VGPRBlocks: 3
; NumSGPRsForWavesPerEU: 30
; NumVGPRsForWavesPerEU: 27
; Occupancy: 16
; WaveLimiterHint : 1
; COMPUTE_PGM_RSRC2:SCRATCH_EN: 0
; COMPUTE_PGM_RSRC2:USER_SGPR: 13
; COMPUTE_PGM_RSRC2:TRAP_HANDLER: 0
; COMPUTE_PGM_RSRC2:TGID_X_EN: 1
; COMPUTE_PGM_RSRC2:TGID_Y_EN: 1
; COMPUTE_PGM_RSRC2:TGID_Z_EN: 1
; COMPUTE_PGM_RSRC2:TIDIG_COMP_CNT: 0
	.section	.text._ZN7rocprim17ROCPRIM_304000_NS6detail33device_block_merge_oddeven_kernelINS1_37wrapped_merge_sort_block_merge_configINS0_14default_configEiN2at4cuda3cub6detail10OpaqueTypeILi1EEEEEPiSC_PSA_SD_jNS1_19radix_merge_compareILb1ELb0EiNS0_19identity_decomposerEEEEEvT0_T1_T2_T3_T4_SL_T5_,"axG",@progbits,_ZN7rocprim17ROCPRIM_304000_NS6detail33device_block_merge_oddeven_kernelINS1_37wrapped_merge_sort_block_merge_configINS0_14default_configEiN2at4cuda3cub6detail10OpaqueTypeILi1EEEEEPiSC_PSA_SD_jNS1_19radix_merge_compareILb1ELb0EiNS0_19identity_decomposerEEEEEvT0_T1_T2_T3_T4_SL_T5_,comdat
	.protected	_ZN7rocprim17ROCPRIM_304000_NS6detail33device_block_merge_oddeven_kernelINS1_37wrapped_merge_sort_block_merge_configINS0_14default_configEiN2at4cuda3cub6detail10OpaqueTypeILi1EEEEEPiSC_PSA_SD_jNS1_19radix_merge_compareILb1ELb0EiNS0_19identity_decomposerEEEEEvT0_T1_T2_T3_T4_SL_T5_ ; -- Begin function _ZN7rocprim17ROCPRIM_304000_NS6detail33device_block_merge_oddeven_kernelINS1_37wrapped_merge_sort_block_merge_configINS0_14default_configEiN2at4cuda3cub6detail10OpaqueTypeILi1EEEEEPiSC_PSA_SD_jNS1_19radix_merge_compareILb1ELb0EiNS0_19identity_decomposerEEEEEvT0_T1_T2_T3_T4_SL_T5_
	.globl	_ZN7rocprim17ROCPRIM_304000_NS6detail33device_block_merge_oddeven_kernelINS1_37wrapped_merge_sort_block_merge_configINS0_14default_configEiN2at4cuda3cub6detail10OpaqueTypeILi1EEEEEPiSC_PSA_SD_jNS1_19radix_merge_compareILb1ELb0EiNS0_19identity_decomposerEEEEEvT0_T1_T2_T3_T4_SL_T5_
	.p2align	8
	.type	_ZN7rocprim17ROCPRIM_304000_NS6detail33device_block_merge_oddeven_kernelINS1_37wrapped_merge_sort_block_merge_configINS0_14default_configEiN2at4cuda3cub6detail10OpaqueTypeILi1EEEEEPiSC_PSA_SD_jNS1_19radix_merge_compareILb1ELb0EiNS0_19identity_decomposerEEEEEvT0_T1_T2_T3_T4_SL_T5_,@function
_ZN7rocprim17ROCPRIM_304000_NS6detail33device_block_merge_oddeven_kernelINS1_37wrapped_merge_sort_block_merge_configINS0_14default_configEiN2at4cuda3cub6detail10OpaqueTypeILi1EEEEEPiSC_PSA_SD_jNS1_19radix_merge_compareILb1ELb0EiNS0_19identity_decomposerEEEEEvT0_T1_T2_T3_T4_SL_T5_: ; @_ZN7rocprim17ROCPRIM_304000_NS6detail33device_block_merge_oddeven_kernelINS1_37wrapped_merge_sort_block_merge_configINS0_14default_configEiN2at4cuda3cub6detail10OpaqueTypeILi1EEEEEPiSC_PSA_SD_jNS1_19radix_merge_compareILb1ELb0EiNS0_19identity_decomposerEEEEEvT0_T1_T2_T3_T4_SL_T5_
; %bb.0:
	s_load_b64 s[16:17], s[0:1], 0x20
	s_waitcnt lgkmcnt(0)
	s_lshr_b32 s2, s16, 8
	s_delay_alu instid0(SALU_CYCLE_1) | instskip(SKIP_4) | instid1(SALU_CYCLE_1)
	s_cmp_lg_u32 s15, s2
	s_cselect_b32 s4, -1, 0
	s_cmp_eq_u32 s15, s2
	s_cselect_b32 s3, -1, 0
	s_lshl_b32 s12, s15, 8
	s_sub_i32 s2, s16, s12
	s_delay_alu instid0(SALU_CYCLE_1) | instskip(NEXT) | instid1(VALU_DEP_1)
	v_cmp_gt_u32_e64 s2, s2, v0
	s_or_b32 s4, s4, s2
	s_delay_alu instid0(SALU_CYCLE_1)
	s_and_saveexec_b32 s5, s4
	s_cbranch_execz .LBB4_26
; %bb.1:
	s_load_b256 s[4:11], s[0:1], 0x0
	s_mov_b32 s13, 0
	v_lshlrev_b32_e32 v1, 2, v0
	s_lshl_b64 s[0:1], s[12:13], 2
	v_add_nc_u32_e32 v2, s12, v0
	s_waitcnt lgkmcnt(0)
	s_add_u32 s0, s4, s0
	s_addc_u32 s1, s5, s1
	s_add_u32 s8, s8, s12
	s_addc_u32 s9, s9, 0
	global_load_u8 v4, v0, s[8:9]
	global_load_b32 v5, v1, s[0:1]
	s_lshr_b32 s0, s17, 8
	s_delay_alu instid0(SALU_CYCLE_1) | instskip(NEXT) | instid1(SALU_CYCLE_1)
	s_sub_i32 s1, 0, s0
	s_and_b32 s1, s15, s1
	s_delay_alu instid0(SALU_CYCLE_1) | instskip(SKIP_4) | instid1(SALU_CYCLE_1)
	s_and_b32 s0, s1, s0
	s_lshl_b32 s9, s1, 8
	s_sub_i32 s1, 0, s17
	s_cmp_eq_u32 s0, 0
	s_cselect_b32 s0, -1, 0
	s_and_b32 s8, s0, exec_lo
	s_cselect_b32 s1, s17, s1
	s_delay_alu instid0(SALU_CYCLE_1) | instskip(NEXT) | instid1(SALU_CYCLE_1)
	s_add_i32 s1, s1, s9
	s_cmp_lt_u32 s1, s16
	s_cbranch_scc1 .LBB4_6
; %bb.2:
	s_and_b32 vcc_lo, exec_lo, s3
	s_cbranch_vccz .LBB4_7
; %bb.3:
	s_mov_b32 s8, 0
	s_mov_b32 s12, exec_lo
                                        ; implicit-def: $vgpr0_vgpr1
	v_cmpx_gt_u32_e64 s16, v2
	s_cbranch_execz .LBB4_5
; %bb.4:
	v_mov_b32_e32 v3, 0
	s_mov_b32 s13, exec_lo
	s_delay_alu instid0(VALU_DEP_1) | instskip(NEXT) | instid1(VALU_DEP_1)
	v_lshlrev_b64 v[0:1], 2, v[2:3]
	v_add_co_u32 v6, vcc_lo, s6, v0
	v_add_co_u32 v0, s14, s10, v2
	s_delay_alu instid0(VALU_DEP_3)
	v_add_co_ci_u32_e32 v7, vcc_lo, s7, v1, vcc_lo
	v_add_co_ci_u32_e64 v1, null, s11, 0, s14
	s_waitcnt vmcnt(0)
	global_store_b32 v[6:7], v5, off
.LBB4_5:
	s_or_b32 exec_lo, exec_lo, s12
	s_delay_alu instid0(SALU_CYCLE_1)
	s_and_b32 vcc_lo, exec_lo, s8
	s_cbranch_vccnz .LBB4_8
	s_branch .LBB4_9
.LBB4_6:
                                        ; implicit-def: $vgpr0_vgpr1
	s_cbranch_execnz .LBB4_10
	s_branch .LBB4_24
.LBB4_7:
                                        ; implicit-def: $vgpr0_vgpr1
	s_cbranch_execz .LBB4_9
.LBB4_8:
	v_mov_b32_e32 v3, 0
	s_or_b32 s13, s13, exec_lo
	s_delay_alu instid0(VALU_DEP_1) | instskip(NEXT) | instid1(VALU_DEP_1)
	v_lshlrev_b64 v[0:1], 2, v[2:3]
	v_add_co_u32 v6, vcc_lo, s6, v0
	v_add_co_u32 v0, s8, s10, v2
	s_delay_alu instid0(VALU_DEP_3)
	v_add_co_ci_u32_e32 v7, vcc_lo, s7, v1, vcc_lo
	v_add_co_ci_u32_e64 v1, null, s11, 0, s8
	s_waitcnt vmcnt(0)
	global_store_b32 v[6:7], v5, off
.LBB4_9:
	s_branch .LBB4_24
.LBB4_10:
	s_min_u32 s8, s1, s16
	s_and_b32 vcc_lo, exec_lo, s3
	s_add_i32 s12, s9, s8
	s_min_u32 s9, s9, s8
	v_subrev_nc_u32_e32 v0, s12, v2
	s_add_i32 s12, s8, s17
	s_delay_alu instid0(SALU_CYCLE_1) | instskip(NEXT) | instid1(VALU_DEP_1)
	s_min_u32 s3, s12, s16
	v_add_nc_u32_e32 v2, s9, v0
	s_cbranch_vccz .LBB4_18
; %bb.11:
                                        ; implicit-def: $vgpr0_vgpr1
	s_and_saveexec_b32 s9, s2
	s_cbranch_execz .LBB4_17
; %bb.12:
	v_mov_b32_e32 v3, s8
	s_cmp_ge_u32 s1, s3
	s_cbranch_scc1 .LBB4_16
; %bb.13:
	v_dual_mov_b32 v6, s3 :: v_dual_mov_b32 v3, s8
	v_mov_b32_e32 v1, 0
	s_mov_b32 s2, 0
	.p2align	6
.LBB4_14:                               ; =>This Inner Loop Header: Depth=1
	s_delay_alu instid0(VALU_DEP_2) | instskip(NEXT) | instid1(VALU_DEP_1)
	v_add_nc_u32_e32 v0, v3, v6
	v_lshrrev_b32_e32 v0, 1, v0
	s_delay_alu instid0(VALU_DEP_1) | instskip(NEXT) | instid1(VALU_DEP_1)
	v_lshlrev_b64 v[7:8], 2, v[0:1]
	v_add_co_u32 v7, vcc_lo, s4, v7
	s_delay_alu instid0(VALU_DEP_2)
	v_add_co_ci_u32_e32 v8, vcc_lo, s5, v8, vcc_lo
	global_load_b32 v7, v[7:8], off
	s_waitcnt vmcnt(0)
	v_cmp_gt_i32_e32 vcc_lo, v7, v5
	v_cndmask_b32_e64 v8, 0, 1, vcc_lo
	v_cmp_le_i32_e32 vcc_lo, v5, v7
	v_cndmask_b32_e64 v7, 0, 1, vcc_lo
	s_delay_alu instid0(VALU_DEP_1) | instskip(SKIP_1) | instid1(VALU_DEP_2)
	v_cndmask_b32_e64 v7, v7, v8, s0
	v_add_nc_u32_e32 v8, 1, v0
	v_and_b32_e32 v7, 1, v7
	s_delay_alu instid0(VALU_DEP_1) | instskip(NEXT) | instid1(VALU_DEP_3)
	v_cmp_eq_u32_e32 vcc_lo, 1, v7
	v_dual_cndmask_b32 v6, v0, v6 :: v_dual_cndmask_b32 v3, v3, v8
	s_delay_alu instid0(VALU_DEP_1) | instskip(SKIP_1) | instid1(SALU_CYCLE_1)
	v_cmp_ge_u32_e32 vcc_lo, v3, v6
	s_or_b32 s2, vcc_lo, s2
	s_and_not1_b32 exec_lo, exec_lo, s2
	s_cbranch_execnz .LBB4_14
; %bb.15:
	s_or_b32 exec_lo, exec_lo, s2
.LBB4_16:
	s_delay_alu instid0(VALU_DEP_1) | instskip(SKIP_1) | instid1(VALU_DEP_1)
	v_dual_mov_b32 v1, 0 :: v_dual_add_nc_u32 v0, v3, v2
	s_or_b32 s13, s13, exec_lo
	v_lshlrev_b64 v[6:7], 2, v[0:1]
	v_add_co_u32 v0, s2, s10, v0
	s_delay_alu instid0(VALU_DEP_1) | instskip(NEXT) | instid1(VALU_DEP_3)
	v_add_co_ci_u32_e64 v1, null, s11, 0, s2
	v_add_co_u32 v6, vcc_lo, s6, v6
	s_delay_alu instid0(VALU_DEP_4)
	v_add_co_ci_u32_e32 v7, vcc_lo, s7, v7, vcc_lo
	s_waitcnt vmcnt(0)
	global_store_b32 v[6:7], v5, off
.LBB4_17:
	s_or_b32 exec_lo, exec_lo, s9
	s_branch .LBB4_24
.LBB4_18:
                                        ; implicit-def: $vgpr0_vgpr1
	s_cbranch_execz .LBB4_24
; %bb.19:
	v_mov_b32_e32 v3, s8
	s_cmp_ge_u32 s1, s3
	s_cbranch_scc1 .LBB4_23
; %bb.20:
	v_dual_mov_b32 v6, s3 :: v_dual_mov_b32 v3, s8
	v_mov_b32_e32 v1, 0
	s_mov_b32 s1, 0
	.p2align	6
.LBB4_21:                               ; =>This Inner Loop Header: Depth=1
	s_delay_alu instid0(VALU_DEP_2) | instskip(NEXT) | instid1(VALU_DEP_1)
	v_add_nc_u32_e32 v0, v3, v6
	v_lshrrev_b32_e32 v0, 1, v0
	s_delay_alu instid0(VALU_DEP_1) | instskip(NEXT) | instid1(VALU_DEP_1)
	v_lshlrev_b64 v[7:8], 2, v[0:1]
	v_add_co_u32 v7, vcc_lo, s4, v7
	s_delay_alu instid0(VALU_DEP_2)
	v_add_co_ci_u32_e32 v8, vcc_lo, s5, v8, vcc_lo
	global_load_b32 v7, v[7:8], off
	s_waitcnt vmcnt(0)
	v_cmp_gt_i32_e32 vcc_lo, v7, v5
	v_cndmask_b32_e64 v8, 0, 1, vcc_lo
	v_cmp_le_i32_e32 vcc_lo, v5, v7
	v_cndmask_b32_e64 v7, 0, 1, vcc_lo
	s_delay_alu instid0(VALU_DEP_1) | instskip(SKIP_1) | instid1(VALU_DEP_2)
	v_cndmask_b32_e64 v7, v7, v8, s0
	v_add_nc_u32_e32 v8, 1, v0
	v_and_b32_e32 v7, 1, v7
	s_delay_alu instid0(VALU_DEP_1) | instskip(NEXT) | instid1(VALU_DEP_3)
	v_cmp_eq_u32_e32 vcc_lo, 1, v7
	v_dual_cndmask_b32 v6, v0, v6 :: v_dual_cndmask_b32 v3, v3, v8
	s_delay_alu instid0(VALU_DEP_1) | instskip(SKIP_1) | instid1(SALU_CYCLE_1)
	v_cmp_ge_u32_e32 vcc_lo, v3, v6
	s_or_b32 s1, vcc_lo, s1
	s_and_not1_b32 exec_lo, exec_lo, s1
	s_cbranch_execnz .LBB4_21
; %bb.22:
	s_or_b32 exec_lo, exec_lo, s1
.LBB4_23:
	s_delay_alu instid0(VALU_DEP_1) | instskip(SKIP_1) | instid1(VALU_DEP_1)
	v_dual_mov_b32 v1, 0 :: v_dual_add_nc_u32 v0, v3, v2
	s_mov_b32 s13, -1
	v_lshlrev_b64 v[1:2], 2, v[0:1]
	v_add_co_u32 v0, s0, s10, v0
	s_delay_alu instid0(VALU_DEP_2) | instskip(NEXT) | instid1(VALU_DEP_3)
	v_add_co_u32 v6, vcc_lo, s6, v1
	v_add_co_ci_u32_e32 v7, vcc_lo, s7, v2, vcc_lo
	v_add_co_ci_u32_e64 v1, null, s11, 0, s0
	s_waitcnt vmcnt(0)
	global_store_b32 v[6:7], v5, off
.LBB4_24:
	s_and_b32 exec_lo, exec_lo, s13
	s_cbranch_execz .LBB4_26
; %bb.25:
	s_waitcnt vmcnt(1)
	global_store_b8 v[0:1], v4, off
.LBB4_26:
	s_nop 0
	s_sendmsg sendmsg(MSG_DEALLOC_VGPRS)
	s_endpgm
	.section	.rodata,"a",@progbits
	.p2align	6, 0x0
	.amdhsa_kernel _ZN7rocprim17ROCPRIM_304000_NS6detail33device_block_merge_oddeven_kernelINS1_37wrapped_merge_sort_block_merge_configINS0_14default_configEiN2at4cuda3cub6detail10OpaqueTypeILi1EEEEEPiSC_PSA_SD_jNS1_19radix_merge_compareILb1ELb0EiNS0_19identity_decomposerEEEEEvT0_T1_T2_T3_T4_SL_T5_
		.amdhsa_group_segment_fixed_size 0
		.amdhsa_private_segment_fixed_size 0
		.amdhsa_kernarg_size 44
		.amdhsa_user_sgpr_count 15
		.amdhsa_user_sgpr_dispatch_ptr 0
		.amdhsa_user_sgpr_queue_ptr 0
		.amdhsa_user_sgpr_kernarg_segment_ptr 1
		.amdhsa_user_sgpr_dispatch_id 0
		.amdhsa_user_sgpr_private_segment_size 0
		.amdhsa_wavefront_size32 1
		.amdhsa_uses_dynamic_stack 0
		.amdhsa_enable_private_segment 0
		.amdhsa_system_sgpr_workgroup_id_x 1
		.amdhsa_system_sgpr_workgroup_id_y 0
		.amdhsa_system_sgpr_workgroup_id_z 0
		.amdhsa_system_sgpr_workgroup_info 0
		.amdhsa_system_vgpr_workitem_id 0
		.amdhsa_next_free_vgpr 9
		.amdhsa_next_free_sgpr 18
		.amdhsa_reserve_vcc 1
		.amdhsa_float_round_mode_32 0
		.amdhsa_float_round_mode_16_64 0
		.amdhsa_float_denorm_mode_32 3
		.amdhsa_float_denorm_mode_16_64 3
		.amdhsa_dx10_clamp 1
		.amdhsa_ieee_mode 1
		.amdhsa_fp16_overflow 0
		.amdhsa_workgroup_processor_mode 1
		.amdhsa_memory_ordered 1
		.amdhsa_forward_progress 0
		.amdhsa_shared_vgpr_count 0
		.amdhsa_exception_fp_ieee_invalid_op 0
		.amdhsa_exception_fp_denorm_src 0
		.amdhsa_exception_fp_ieee_div_zero 0
		.amdhsa_exception_fp_ieee_overflow 0
		.amdhsa_exception_fp_ieee_underflow 0
		.amdhsa_exception_fp_ieee_inexact 0
		.amdhsa_exception_int_div_zero 0
	.end_amdhsa_kernel
	.section	.text._ZN7rocprim17ROCPRIM_304000_NS6detail33device_block_merge_oddeven_kernelINS1_37wrapped_merge_sort_block_merge_configINS0_14default_configEiN2at4cuda3cub6detail10OpaqueTypeILi1EEEEEPiSC_PSA_SD_jNS1_19radix_merge_compareILb1ELb0EiNS0_19identity_decomposerEEEEEvT0_T1_T2_T3_T4_SL_T5_,"axG",@progbits,_ZN7rocprim17ROCPRIM_304000_NS6detail33device_block_merge_oddeven_kernelINS1_37wrapped_merge_sort_block_merge_configINS0_14default_configEiN2at4cuda3cub6detail10OpaqueTypeILi1EEEEEPiSC_PSA_SD_jNS1_19radix_merge_compareILb1ELb0EiNS0_19identity_decomposerEEEEEvT0_T1_T2_T3_T4_SL_T5_,comdat
.Lfunc_end4:
	.size	_ZN7rocprim17ROCPRIM_304000_NS6detail33device_block_merge_oddeven_kernelINS1_37wrapped_merge_sort_block_merge_configINS0_14default_configEiN2at4cuda3cub6detail10OpaqueTypeILi1EEEEEPiSC_PSA_SD_jNS1_19radix_merge_compareILb1ELb0EiNS0_19identity_decomposerEEEEEvT0_T1_T2_T3_T4_SL_T5_, .Lfunc_end4-_ZN7rocprim17ROCPRIM_304000_NS6detail33device_block_merge_oddeven_kernelINS1_37wrapped_merge_sort_block_merge_configINS0_14default_configEiN2at4cuda3cub6detail10OpaqueTypeILi1EEEEEPiSC_PSA_SD_jNS1_19radix_merge_compareILb1ELb0EiNS0_19identity_decomposerEEEEEvT0_T1_T2_T3_T4_SL_T5_
                                        ; -- End function
	.section	.AMDGPU.csdata,"",@progbits
; Kernel info:
; codeLenInByte = 948
; NumSgprs: 20
; NumVgprs: 9
; ScratchSize: 0
; MemoryBound: 0
; FloatMode: 240
; IeeeMode: 1
; LDSByteSize: 0 bytes/workgroup (compile time only)
; SGPRBlocks: 2
; VGPRBlocks: 1
; NumSGPRsForWavesPerEU: 20
; NumVGPRsForWavesPerEU: 9
; Occupancy: 16
; WaveLimiterHint : 0
; COMPUTE_PGM_RSRC2:SCRATCH_EN: 0
; COMPUTE_PGM_RSRC2:USER_SGPR: 15
; COMPUTE_PGM_RSRC2:TRAP_HANDLER: 0
; COMPUTE_PGM_RSRC2:TGID_X_EN: 1
; COMPUTE_PGM_RSRC2:TGID_Y_EN: 0
; COMPUTE_PGM_RSRC2:TGID_Z_EN: 0
; COMPUTE_PGM_RSRC2:TIDIG_COMP_CNT: 0
	.section	.text._ZN7rocprim17ROCPRIM_304000_NS6detail16transform_kernelINS1_24wrapped_transform_configINS0_14default_configEiEEiPiS6_NS0_8identityIiEEEEvT1_mT2_T3_,"axG",@progbits,_ZN7rocprim17ROCPRIM_304000_NS6detail16transform_kernelINS1_24wrapped_transform_configINS0_14default_configEiEEiPiS6_NS0_8identityIiEEEEvT1_mT2_T3_,comdat
	.protected	_ZN7rocprim17ROCPRIM_304000_NS6detail16transform_kernelINS1_24wrapped_transform_configINS0_14default_configEiEEiPiS6_NS0_8identityIiEEEEvT1_mT2_T3_ ; -- Begin function _ZN7rocprim17ROCPRIM_304000_NS6detail16transform_kernelINS1_24wrapped_transform_configINS0_14default_configEiEEiPiS6_NS0_8identityIiEEEEvT1_mT2_T3_
	.globl	_ZN7rocprim17ROCPRIM_304000_NS6detail16transform_kernelINS1_24wrapped_transform_configINS0_14default_configEiEEiPiS6_NS0_8identityIiEEEEvT1_mT2_T3_
	.p2align	8
	.type	_ZN7rocprim17ROCPRIM_304000_NS6detail16transform_kernelINS1_24wrapped_transform_configINS0_14default_configEiEEiPiS6_NS0_8identityIiEEEEvT1_mT2_T3_,@function
_ZN7rocprim17ROCPRIM_304000_NS6detail16transform_kernelINS1_24wrapped_transform_configINS0_14default_configEiEEiPiS6_NS0_8identityIiEEEEvT1_mT2_T3_: ; @_ZN7rocprim17ROCPRIM_304000_NS6detail16transform_kernelINS1_24wrapped_transform_configINS0_14default_configEiEEiPiS6_NS0_8identityIiEEEEvT1_mT2_T3_
; %bb.0:
	s_clause 0x2
	s_load_b32 s2, s[0:1], 0x20
	s_load_b128 s[4:7], s[0:1], 0x0
	s_load_b64 s[16:17], s[0:1], 0x10
	s_mov_b32 s21, 0
	s_lshl_b32 s20, s15, 12
	v_lshlrev_b32_e32 v3, 2, v0
	s_lshl_b64 s[18:19], s[20:21], 2
	s_waitcnt lgkmcnt(0)
	s_add_i32 s2, s2, -1
	s_add_u32 s0, s4, s18
	s_addc_u32 s1, s5, s19
	v_add_co_u32 v1, s0, s0, v3
	s_delay_alu instid0(VALU_DEP_1)
	v_add_co_ci_u32_e64 v2, null, s1, 0, s0
	s_cmp_lg_u32 s15, s2
	s_mov_b32 s0, -1
	s_cbranch_scc0 .LBB5_2
; %bb.1:
	v_add_co_u32 v4, vcc_lo, 0x1000, v1
	v_add_co_ci_u32_e32 v5, vcc_lo, 0, v2, vcc_lo
	v_add_co_u32 v6, vcc_lo, v1, 0x2000
	v_add_co_ci_u32_e32 v7, vcc_lo, 0, v2, vcc_lo
	;; [unrolled: 2-line block ×3, first 2 shown]
	v_add_co_u32 v10, vcc_lo, 0x3000, v1
	global_load_b32 v13, v[6:7], off
	v_add_co_ci_u32_e32 v11, vcc_lo, 0, v2, vcc_lo
	s_clause 0xe
	global_load_b32 v14, v[1:2], off
	global_load_b32 v15, v[1:2], off offset:1024
	global_load_b32 v16, v[1:2], off offset:2048
	;; [unrolled: 1-line block ×9, first 2 shown]
	global_load_b32 v24, v[10:11], off
	global_load_b32 v25, v[10:11], off offset:1024
	global_load_b32 v26, v[6:7], off offset:-4096
	global_load_b32 v27, v[10:11], off offset:2048
	global_load_b32 v4, v[10:11], off offset:3072
	s_add_u32 s2, s16, s18
	s_addc_u32 s3, s17, s19
	v_add_co_u32 v11, s1, s2, v3
	s_delay_alu instid0(VALU_DEP_1) | instskip(NEXT) | instid1(VALU_DEP_2)
	v_add_co_ci_u32_e64 v12, null, s3, 0, s1
	v_add_co_u32 v5, vcc_lo, 0x1000, v11
	s_delay_alu instid0(VALU_DEP_2)
	v_add_co_ci_u32_e32 v6, vcc_lo, 0, v12, vcc_lo
	v_add_co_u32 v7, vcc_lo, v11, 0x2000
	v_add_co_ci_u32_e32 v8, vcc_lo, 0, v12, vcc_lo
	v_add_co_u32 v9, vcc_lo, 0x2000, v11
	;; [unrolled: 2-line block ×3, first 2 shown]
	s_mov_b32 s21, -1
	v_add_co_ci_u32_e32 v12, vcc_lo, 0, v12, vcc_lo
	s_waitcnt vmcnt(15)
	global_store_b32 v[7:8], v13, off
	s_waitcnt vmcnt(14)
	global_store_b32 v3, v14, s[2:3]
	s_waitcnt vmcnt(13)
	global_store_b32 v3, v15, s[2:3] offset:1024
	s_waitcnt vmcnt(12)
	global_store_b32 v3, v16, s[2:3] offset:2048
	;; [unrolled: 2-line block ×3, first 2 shown]
	s_waitcnt vmcnt(10)
	global_store_b32 v[5:6], v18, off offset:1024
	s_waitcnt vmcnt(9)
	global_store_b32 v[5:6], v19, off offset:2048
	;; [unrolled: 2-line block ×6, first 2 shown]
	s_waitcnt vmcnt(4)
	global_store_b32 v[11:12], v24, off
	s_waitcnt vmcnt(3)
	global_store_b32 v[11:12], v25, off offset:1024
	s_waitcnt vmcnt(2)
	global_store_b32 v[7:8], v26, off offset:-4096
	s_waitcnt vmcnt(1)
	global_store_b32 v[11:12], v27, off offset:2048
	s_cbranch_execz .LBB5_3
	s_branch .LBB5_52
.LBB5_2:
                                        ; implicit-def: $vgpr4
	s_and_not1_b32 vcc_lo, exec_lo, s0
	s_cbranch_vccnz .LBB5_52
.LBB5_3:
	s_sub_i32 s15, s6, s20
                                        ; implicit-def: $vgpr5
	s_delay_alu instid0(SALU_CYCLE_1)
	v_cmp_gt_u32_e32 vcc_lo, s15, v0
	s_and_saveexec_b32 s0, vcc_lo
	s_cbranch_execz .LBB5_5
; %bb.4:
	global_load_b32 v5, v[1:2], off
.LBB5_5:
	s_or_b32 exec_lo, exec_lo, s0
	s_waitcnt vmcnt(0)
	v_or_b32_e32 v4, 0x100, v0
                                        ; implicit-def: $vgpr6
	s_delay_alu instid0(VALU_DEP_1) | instskip(NEXT) | instid1(VALU_DEP_1)
	v_cmp_gt_u32_e64 s0, s15, v4
	s_and_saveexec_b32 s1, s0
	s_cbranch_execz .LBB5_7
; %bb.6:
	global_load_b32 v6, v[1:2], off offset:1024
.LBB5_7:
	s_or_b32 exec_lo, exec_lo, s1
	v_or_b32_e32 v4, 0x200, v0
                                        ; implicit-def: $vgpr7
	s_delay_alu instid0(VALU_DEP_1) | instskip(NEXT) | instid1(VALU_DEP_1)
	v_cmp_gt_u32_e64 s1, s15, v4
	s_and_saveexec_b32 s2, s1
	s_cbranch_execz .LBB5_9
; %bb.8:
	global_load_b32 v7, v[1:2], off offset:2048
.LBB5_9:
	s_or_b32 exec_lo, exec_lo, s2
	v_or_b32_e32 v4, 0x300, v0
                                        ; implicit-def: $vgpr8
	s_delay_alu instid0(VALU_DEP_1) | instskip(NEXT) | instid1(VALU_DEP_1)
	v_cmp_gt_u32_e64 s2, s15, v4
	s_and_saveexec_b32 s3, s2
	s_cbranch_execz .LBB5_11
; %bb.10:
	global_load_b32 v8, v[1:2], off offset:3072
.LBB5_11:
	s_or_b32 exec_lo, exec_lo, s3
	v_or_b32_e32 v4, 0x400, v0
                                        ; implicit-def: $vgpr9
	s_delay_alu instid0(VALU_DEP_1) | instskip(NEXT) | instid1(VALU_DEP_1)
	v_cmp_gt_u32_e64 s3, s15, v4
	s_and_saveexec_b32 s5, s3
	s_cbranch_execz .LBB5_13
; %bb.12:
	v_add_co_u32 v9, s4, 0x1000, v1
	s_delay_alu instid0(VALU_DEP_1)
	v_add_co_ci_u32_e64 v10, s4, 0, v2, s4
	global_load_b32 v9, v[9:10], off
.LBB5_13:
	s_or_b32 exec_lo, exec_lo, s5
	v_or_b32_e32 v4, 0x500, v0
                                        ; implicit-def: $vgpr10
	s_delay_alu instid0(VALU_DEP_1) | instskip(NEXT) | instid1(VALU_DEP_1)
	v_cmp_gt_u32_e64 s4, s15, v4
	s_and_saveexec_b32 s6, s4
	s_cbranch_execz .LBB5_15
; %bb.14:
	v_add_co_u32 v10, s5, 0x1000, v1
	s_delay_alu instid0(VALU_DEP_1)
	v_add_co_ci_u32_e64 v11, s5, 0, v2, s5
	global_load_b32 v10, v[10:11], off offset:1024
.LBB5_15:
	s_or_b32 exec_lo, exec_lo, s6
	v_or_b32_e32 v4, 0x600, v0
                                        ; implicit-def: $vgpr11
	s_delay_alu instid0(VALU_DEP_1) | instskip(NEXT) | instid1(VALU_DEP_1)
	v_cmp_gt_u32_e64 s5, s15, v4
	s_and_saveexec_b32 s7, s5
	s_cbranch_execz .LBB5_17
; %bb.16:
	v_add_co_u32 v11, s6, 0x1000, v1
	s_delay_alu instid0(VALU_DEP_1)
	v_add_co_ci_u32_e64 v12, s6, 0, v2, s6
	global_load_b32 v11, v[11:12], off offset:2048
.LBB5_17:
	s_or_b32 exec_lo, exec_lo, s7
	v_or_b32_e32 v4, 0x700, v0
                                        ; implicit-def: $vgpr12
	s_delay_alu instid0(VALU_DEP_1) | instskip(NEXT) | instid1(VALU_DEP_1)
	v_cmp_gt_u32_e64 s6, s15, v4
	s_and_saveexec_b32 s8, s6
	s_cbranch_execz .LBB5_19
; %bb.18:
	v_add_co_u32 v12, s7, 0x1000, v1
	s_delay_alu instid0(VALU_DEP_1)
	v_add_co_ci_u32_e64 v13, s7, 0, v2, s7
	global_load_b32 v12, v[12:13], off offset:3072
.LBB5_19:
	s_or_b32 exec_lo, exec_lo, s8
	v_or_b32_e32 v4, 0x800, v0
                                        ; implicit-def: $vgpr13
	s_delay_alu instid0(VALU_DEP_1) | instskip(NEXT) | instid1(VALU_DEP_1)
	v_cmp_gt_u32_e64 s7, s15, v4
	s_and_saveexec_b32 s9, s7
	s_cbranch_execz .LBB5_21
; %bb.20:
	v_add_co_u32 v13, s8, 0x2000, v1
	s_delay_alu instid0(VALU_DEP_1)
	v_add_co_ci_u32_e64 v14, s8, 0, v2, s8
	global_load_b32 v13, v[13:14], off
.LBB5_21:
	s_or_b32 exec_lo, exec_lo, s9
	v_or_b32_e32 v4, 0x900, v0
                                        ; implicit-def: $vgpr14
	s_delay_alu instid0(VALU_DEP_1) | instskip(NEXT) | instid1(VALU_DEP_1)
	v_cmp_gt_u32_e64 s8, s15, v4
	s_and_saveexec_b32 s10, s8
	s_cbranch_execz .LBB5_23
; %bb.22:
	v_add_co_u32 v14, s9, 0x2000, v1
	s_delay_alu instid0(VALU_DEP_1)
	v_add_co_ci_u32_e64 v15, s9, 0, v2, s9
	global_load_b32 v14, v[14:15], off offset:1024
.LBB5_23:
	s_or_b32 exec_lo, exec_lo, s10
	v_or_b32_e32 v4, 0xa00, v0
                                        ; implicit-def: $vgpr15
	s_delay_alu instid0(VALU_DEP_1) | instskip(NEXT) | instid1(VALU_DEP_1)
	v_cmp_gt_u32_e64 s9, s15, v4
	s_and_saveexec_b32 s11, s9
	s_cbranch_execz .LBB5_25
; %bb.24:
	v_add_co_u32 v15, s10, 0x2000, v1
	s_delay_alu instid0(VALU_DEP_1)
	v_add_co_ci_u32_e64 v16, s10, 0, v2, s10
	global_load_b32 v15, v[15:16], off offset:2048
.LBB5_25:
	s_or_b32 exec_lo, exec_lo, s11
	v_or_b32_e32 v4, 0xb00, v0
                                        ; implicit-def: $vgpr16
	s_delay_alu instid0(VALU_DEP_1) | instskip(NEXT) | instid1(VALU_DEP_1)
	v_cmp_gt_u32_e64 s10, s15, v4
	s_and_saveexec_b32 s12, s10
	s_cbranch_execz .LBB5_27
; %bb.26:
	v_add_co_u32 v16, s11, 0x2000, v1
	s_delay_alu instid0(VALU_DEP_1)
	v_add_co_ci_u32_e64 v17, s11, 0, v2, s11
	global_load_b32 v16, v[16:17], off offset:3072
.LBB5_27:
	s_or_b32 exec_lo, exec_lo, s12
	v_or_b32_e32 v4, 0xc00, v0
                                        ; implicit-def: $vgpr17
	s_delay_alu instid0(VALU_DEP_1) | instskip(NEXT) | instid1(VALU_DEP_1)
	v_cmp_gt_u32_e64 s11, s15, v4
	s_and_saveexec_b32 s13, s11
	s_cbranch_execz .LBB5_29
; %bb.28:
	v_add_co_u32 v17, s12, 0x3000, v1
	s_delay_alu instid0(VALU_DEP_1)
	v_add_co_ci_u32_e64 v18, s12, 0, v2, s12
	global_load_b32 v17, v[17:18], off
.LBB5_29:
	s_or_b32 exec_lo, exec_lo, s13
	v_or_b32_e32 v4, 0xd00, v0
                                        ; implicit-def: $vgpr18
	s_delay_alu instid0(VALU_DEP_1) | instskip(NEXT) | instid1(VALU_DEP_1)
	v_cmp_gt_u32_e64 s12, s15, v4
	s_and_saveexec_b32 s14, s12
	s_cbranch_execz .LBB5_31
; %bb.30:
	v_add_co_u32 v18, s13, 0x3000, v1
	s_delay_alu instid0(VALU_DEP_1)
	v_add_co_ci_u32_e64 v19, s13, 0, v2, s13
	global_load_b32 v18, v[18:19], off offset:1024
.LBB5_31:
	s_or_b32 exec_lo, exec_lo, s14
	v_or_b32_e32 v4, 0xe00, v0
                                        ; implicit-def: $vgpr19
	s_delay_alu instid0(VALU_DEP_1) | instskip(NEXT) | instid1(VALU_DEP_1)
	v_cmp_gt_u32_e64 s13, s15, v4
	s_and_saveexec_b32 s20, s13
	s_cbranch_execz .LBB5_33
; %bb.32:
	v_add_co_u32 v19, s14, 0x3000, v1
	s_delay_alu instid0(VALU_DEP_1)
	v_add_co_ci_u32_e64 v20, s14, 0, v2, s14
	global_load_b32 v19, v[19:20], off offset:2048
.LBB5_33:
	s_or_b32 exec_lo, exec_lo, s20
	v_or_b32_e32 v0, 0xf00, v0
                                        ; implicit-def: $vgpr4
	s_delay_alu instid0(VALU_DEP_1) | instskip(NEXT) | instid1(VALU_DEP_1)
	v_cmp_gt_u32_e64 s21, s15, v0
	s_and_saveexec_b32 s15, s21
	s_cbranch_execz .LBB5_35
; %bb.34:
	v_add_co_u32 v0, s14, 0x3000, v1
	s_delay_alu instid0(VALU_DEP_1)
	v_add_co_ci_u32_e64 v1, s14, 0, v2, s14
	global_load_b32 v4, v[0:1], off offset:3072
.LBB5_35:
	s_or_b32 exec_lo, exec_lo, s15
	s_add_u32 s14, s16, s18
	s_addc_u32 s15, s17, s19
	v_add_co_u32 v0, s14, s14, v3
	s_delay_alu instid0(VALU_DEP_1) | instskip(SKIP_1) | instid1(SALU_CYCLE_1)
	v_add_co_ci_u32_e64 v1, null, s15, 0, s14
	s_and_saveexec_b32 s14, vcc_lo
	s_xor_b32 s14, exec_lo, s14
	s_cbranch_execnz .LBB5_55
; %bb.36:
	s_or_b32 exec_lo, exec_lo, s14
	s_and_saveexec_b32 s14, s0
	s_cbranch_execnz .LBB5_56
.LBB5_37:
	s_or_b32 exec_lo, exec_lo, s14
	s_and_saveexec_b32 s0, s1
	s_cbranch_execnz .LBB5_57
.LBB5_38:
	s_or_b32 exec_lo, exec_lo, s0
	s_and_saveexec_b32 s0, s2
	s_cbranch_execnz .LBB5_58
.LBB5_39:
	s_or_b32 exec_lo, exec_lo, s0
	s_and_saveexec_b32 s0, s3
	s_cbranch_execnz .LBB5_59
.LBB5_40:
	s_or_b32 exec_lo, exec_lo, s0
	s_and_saveexec_b32 s0, s4
	s_cbranch_execnz .LBB5_60
.LBB5_41:
	s_or_b32 exec_lo, exec_lo, s0
	s_and_saveexec_b32 s0, s5
	s_cbranch_execnz .LBB5_61
.LBB5_42:
	s_or_b32 exec_lo, exec_lo, s0
	s_and_saveexec_b32 s0, s6
	s_cbranch_execnz .LBB5_62
.LBB5_43:
	s_or_b32 exec_lo, exec_lo, s0
	s_and_saveexec_b32 s0, s7
	s_cbranch_execnz .LBB5_63
.LBB5_44:
	s_or_b32 exec_lo, exec_lo, s0
	s_and_saveexec_b32 s0, s8
	s_cbranch_execnz .LBB5_64
.LBB5_45:
	s_or_b32 exec_lo, exec_lo, s0
	s_and_saveexec_b32 s0, s9
	s_cbranch_execnz .LBB5_65
.LBB5_46:
	s_or_b32 exec_lo, exec_lo, s0
	s_and_saveexec_b32 s0, s10
	s_cbranch_execnz .LBB5_66
.LBB5_47:
	s_or_b32 exec_lo, exec_lo, s0
	s_and_saveexec_b32 s0, s11
	s_cbranch_execnz .LBB5_67
.LBB5_48:
	s_or_b32 exec_lo, exec_lo, s0
	s_and_saveexec_b32 s0, s12
	s_cbranch_execnz .LBB5_68
.LBB5_49:
	s_or_b32 exec_lo, exec_lo, s0
	s_and_saveexec_b32 s0, s13
	s_cbranch_execz .LBB5_51
.LBB5_50:
	v_add_co_u32 v0, vcc_lo, 0x3000, v0
	v_add_co_ci_u32_e32 v1, vcc_lo, 0, v1, vcc_lo
	s_waitcnt vmcnt(0)
	global_store_b32 v[0:1], v19, off offset:2048
.LBB5_51:
	s_or_b32 exec_lo, exec_lo, s0
.LBB5_52:
	s_and_saveexec_b32 s0, s21
	s_cbranch_execnz .LBB5_54
; %bb.53:
	s_nop 0
	s_sendmsg sendmsg(MSG_DEALLOC_VGPRS)
	s_endpgm
.LBB5_54:
	s_add_u32 s0, s16, s18
	s_addc_u32 s1, s17, s19
	v_add_co_u32 v0, s0, s0, v3
	s_delay_alu instid0(VALU_DEP_1) | instskip(NEXT) | instid1(VALU_DEP_2)
	v_add_co_ci_u32_e64 v1, null, s1, 0, s0
	v_add_co_u32 v0, vcc_lo, 0x3000, v0
	s_delay_alu instid0(VALU_DEP_2)
	v_add_co_ci_u32_e32 v1, vcc_lo, 0, v1, vcc_lo
	s_waitcnt vmcnt(0)
	global_store_b32 v[0:1], v4, off offset:3072
	s_nop 0
	s_sendmsg sendmsg(MSG_DEALLOC_VGPRS)
	s_endpgm
.LBB5_55:
	global_store_b32 v[0:1], v5, off
	s_or_b32 exec_lo, exec_lo, s14
	s_and_saveexec_b32 s14, s0
	s_cbranch_execz .LBB5_37
.LBB5_56:
	s_waitcnt vmcnt(0)
	global_store_b32 v[0:1], v6, off offset:1024
	s_or_b32 exec_lo, exec_lo, s14
	s_and_saveexec_b32 s0, s1
	s_cbranch_execz .LBB5_38
.LBB5_57:
	s_waitcnt vmcnt(0)
	global_store_b32 v[0:1], v7, off offset:2048
	s_or_b32 exec_lo, exec_lo, s0
	s_and_saveexec_b32 s0, s2
	s_cbranch_execz .LBB5_39
.LBB5_58:
	s_waitcnt vmcnt(0)
	global_store_b32 v[0:1], v8, off offset:3072
	s_or_b32 exec_lo, exec_lo, s0
	s_and_saveexec_b32 s0, s3
	s_cbranch_execz .LBB5_40
.LBB5_59:
	v_add_co_u32 v5, vcc_lo, 0x1000, v0
	s_waitcnt vmcnt(0)
	v_add_co_ci_u32_e32 v6, vcc_lo, 0, v1, vcc_lo
	global_store_b32 v[5:6], v9, off
	s_or_b32 exec_lo, exec_lo, s0
	s_and_saveexec_b32 s0, s4
	s_cbranch_execz .LBB5_41
.LBB5_60:
	v_add_co_u32 v5, vcc_lo, 0x1000, v0
	s_waitcnt vmcnt(0)
	v_add_co_ci_u32_e32 v6, vcc_lo, 0, v1, vcc_lo
	global_store_b32 v[5:6], v10, off offset:1024
	s_or_b32 exec_lo, exec_lo, s0
	s_and_saveexec_b32 s0, s5
	s_cbranch_execz .LBB5_42
.LBB5_61:
	v_add_co_u32 v5, vcc_lo, 0x1000, v0
	s_waitcnt vmcnt(0)
	v_add_co_ci_u32_e32 v6, vcc_lo, 0, v1, vcc_lo
	global_store_b32 v[5:6], v11, off offset:2048
	s_or_b32 exec_lo, exec_lo, s0
	s_and_saveexec_b32 s0, s6
	s_cbranch_execz .LBB5_43
.LBB5_62:
	v_add_co_u32 v5, vcc_lo, 0x1000, v0
	s_waitcnt vmcnt(0)
	v_add_co_ci_u32_e32 v6, vcc_lo, 0, v1, vcc_lo
	global_store_b32 v[5:6], v12, off offset:3072
	s_or_b32 exec_lo, exec_lo, s0
	s_and_saveexec_b32 s0, s7
	s_cbranch_execz .LBB5_44
.LBB5_63:
	v_add_co_u32 v5, vcc_lo, 0x2000, v0
	s_waitcnt vmcnt(0)
	v_add_co_ci_u32_e32 v6, vcc_lo, 0, v1, vcc_lo
	global_store_b32 v[5:6], v13, off
	s_or_b32 exec_lo, exec_lo, s0
	s_and_saveexec_b32 s0, s8
	s_cbranch_execz .LBB5_45
.LBB5_64:
	v_add_co_u32 v5, vcc_lo, 0x2000, v0
	s_waitcnt vmcnt(0)
	v_add_co_ci_u32_e32 v6, vcc_lo, 0, v1, vcc_lo
	global_store_b32 v[5:6], v14, off offset:1024
	s_or_b32 exec_lo, exec_lo, s0
	s_and_saveexec_b32 s0, s9
	s_cbranch_execz .LBB5_46
.LBB5_65:
	v_add_co_u32 v5, vcc_lo, 0x2000, v0
	s_waitcnt vmcnt(0)
	v_add_co_ci_u32_e32 v6, vcc_lo, 0, v1, vcc_lo
	global_store_b32 v[5:6], v15, off offset:2048
	s_or_b32 exec_lo, exec_lo, s0
	s_and_saveexec_b32 s0, s10
	s_cbranch_execz .LBB5_47
.LBB5_66:
	v_add_co_u32 v5, vcc_lo, 0x2000, v0
	s_waitcnt vmcnt(0)
	v_add_co_ci_u32_e32 v6, vcc_lo, 0, v1, vcc_lo
	global_store_b32 v[5:6], v16, off offset:3072
	s_or_b32 exec_lo, exec_lo, s0
	s_and_saveexec_b32 s0, s11
	s_cbranch_execz .LBB5_48
.LBB5_67:
	v_add_co_u32 v5, vcc_lo, 0x3000, v0
	s_waitcnt vmcnt(0)
	v_add_co_ci_u32_e32 v6, vcc_lo, 0, v1, vcc_lo
	global_store_b32 v[5:6], v17, off
	s_or_b32 exec_lo, exec_lo, s0
	s_and_saveexec_b32 s0, s12
	s_cbranch_execz .LBB5_49
.LBB5_68:
	v_add_co_u32 v5, vcc_lo, 0x3000, v0
	s_waitcnt vmcnt(0)
	v_add_co_ci_u32_e32 v6, vcc_lo, 0, v1, vcc_lo
	global_store_b32 v[5:6], v18, off offset:1024
	s_or_b32 exec_lo, exec_lo, s0
	s_and_saveexec_b32 s0, s13
	s_cbranch_execnz .LBB5_50
	s_branch .LBB5_51
	.section	.rodata,"a",@progbits
	.p2align	6, 0x0
	.amdhsa_kernel _ZN7rocprim17ROCPRIM_304000_NS6detail16transform_kernelINS1_24wrapped_transform_configINS0_14default_configEiEEiPiS6_NS0_8identityIiEEEEvT1_mT2_T3_
		.amdhsa_group_segment_fixed_size 0
		.amdhsa_private_segment_fixed_size 0
		.amdhsa_kernarg_size 288
		.amdhsa_user_sgpr_count 15
		.amdhsa_user_sgpr_dispatch_ptr 0
		.amdhsa_user_sgpr_queue_ptr 0
		.amdhsa_user_sgpr_kernarg_segment_ptr 1
		.amdhsa_user_sgpr_dispatch_id 0
		.amdhsa_user_sgpr_private_segment_size 0
		.amdhsa_wavefront_size32 1
		.amdhsa_uses_dynamic_stack 0
		.amdhsa_enable_private_segment 0
		.amdhsa_system_sgpr_workgroup_id_x 1
		.amdhsa_system_sgpr_workgroup_id_y 0
		.amdhsa_system_sgpr_workgroup_id_z 0
		.amdhsa_system_sgpr_workgroup_info 0
		.amdhsa_system_vgpr_workitem_id 0
		.amdhsa_next_free_vgpr 28
		.amdhsa_next_free_sgpr 22
		.amdhsa_reserve_vcc 1
		.amdhsa_float_round_mode_32 0
		.amdhsa_float_round_mode_16_64 0
		.amdhsa_float_denorm_mode_32 3
		.amdhsa_float_denorm_mode_16_64 3
		.amdhsa_dx10_clamp 1
		.amdhsa_ieee_mode 1
		.amdhsa_fp16_overflow 0
		.amdhsa_workgroup_processor_mode 1
		.amdhsa_memory_ordered 1
		.amdhsa_forward_progress 0
		.amdhsa_shared_vgpr_count 0
		.amdhsa_exception_fp_ieee_invalid_op 0
		.amdhsa_exception_fp_denorm_src 0
		.amdhsa_exception_fp_ieee_div_zero 0
		.amdhsa_exception_fp_ieee_overflow 0
		.amdhsa_exception_fp_ieee_underflow 0
		.amdhsa_exception_fp_ieee_inexact 0
		.amdhsa_exception_int_div_zero 0
	.end_amdhsa_kernel
	.section	.text._ZN7rocprim17ROCPRIM_304000_NS6detail16transform_kernelINS1_24wrapped_transform_configINS0_14default_configEiEEiPiS6_NS0_8identityIiEEEEvT1_mT2_T3_,"axG",@progbits,_ZN7rocprim17ROCPRIM_304000_NS6detail16transform_kernelINS1_24wrapped_transform_configINS0_14default_configEiEEiPiS6_NS0_8identityIiEEEEvT1_mT2_T3_,comdat
.Lfunc_end5:
	.size	_ZN7rocprim17ROCPRIM_304000_NS6detail16transform_kernelINS1_24wrapped_transform_configINS0_14default_configEiEEiPiS6_NS0_8identityIiEEEEvT1_mT2_T3_, .Lfunc_end5-_ZN7rocprim17ROCPRIM_304000_NS6detail16transform_kernelINS1_24wrapped_transform_configINS0_14default_configEiEEiPiS6_NS0_8identityIiEEEEvT1_mT2_T3_
                                        ; -- End function
	.section	.AMDGPU.csdata,"",@progbits
; Kernel info:
; codeLenInByte = 2336
; NumSgprs: 24
; NumVgprs: 28
; ScratchSize: 0
; MemoryBound: 0
; FloatMode: 240
; IeeeMode: 1
; LDSByteSize: 0 bytes/workgroup (compile time only)
; SGPRBlocks: 2
; VGPRBlocks: 3
; NumSGPRsForWavesPerEU: 24
; NumVGPRsForWavesPerEU: 28
; Occupancy: 16
; WaveLimiterHint : 1
; COMPUTE_PGM_RSRC2:SCRATCH_EN: 0
; COMPUTE_PGM_RSRC2:USER_SGPR: 15
; COMPUTE_PGM_RSRC2:TRAP_HANDLER: 0
; COMPUTE_PGM_RSRC2:TGID_X_EN: 1
; COMPUTE_PGM_RSRC2:TGID_Y_EN: 0
; COMPUTE_PGM_RSRC2:TGID_Z_EN: 0
; COMPUTE_PGM_RSRC2:TIDIG_COMP_CNT: 0
	.section	.text._ZN7rocprim17ROCPRIM_304000_NS6detail16transform_kernelINS1_24wrapped_transform_configINS0_14default_configEN2at4cuda3cub6detail10OpaqueTypeILi1EEEEESA_PSA_SC_NS0_8identityISA_EEEEvT1_mT2_T3_,"axG",@progbits,_ZN7rocprim17ROCPRIM_304000_NS6detail16transform_kernelINS1_24wrapped_transform_configINS0_14default_configEN2at4cuda3cub6detail10OpaqueTypeILi1EEEEESA_PSA_SC_NS0_8identityISA_EEEEvT1_mT2_T3_,comdat
	.protected	_ZN7rocprim17ROCPRIM_304000_NS6detail16transform_kernelINS1_24wrapped_transform_configINS0_14default_configEN2at4cuda3cub6detail10OpaqueTypeILi1EEEEESA_PSA_SC_NS0_8identityISA_EEEEvT1_mT2_T3_ ; -- Begin function _ZN7rocprim17ROCPRIM_304000_NS6detail16transform_kernelINS1_24wrapped_transform_configINS0_14default_configEN2at4cuda3cub6detail10OpaqueTypeILi1EEEEESA_PSA_SC_NS0_8identityISA_EEEEvT1_mT2_T3_
	.globl	_ZN7rocprim17ROCPRIM_304000_NS6detail16transform_kernelINS1_24wrapped_transform_configINS0_14default_configEN2at4cuda3cub6detail10OpaqueTypeILi1EEEEESA_PSA_SC_NS0_8identityISA_EEEEvT1_mT2_T3_
	.p2align	8
	.type	_ZN7rocprim17ROCPRIM_304000_NS6detail16transform_kernelINS1_24wrapped_transform_configINS0_14default_configEN2at4cuda3cub6detail10OpaqueTypeILi1EEEEESA_PSA_SC_NS0_8identityISA_EEEEvT1_mT2_T3_,@function
_ZN7rocprim17ROCPRIM_304000_NS6detail16transform_kernelINS1_24wrapped_transform_configINS0_14default_configEN2at4cuda3cub6detail10OpaqueTypeILi1EEEEESA_PSA_SC_NS0_8identityISA_EEEEvT1_mT2_T3_: ; @_ZN7rocprim17ROCPRIM_304000_NS6detail16transform_kernelINS1_24wrapped_transform_configINS0_14default_configEN2at4cuda3cub6detail10OpaqueTypeILi1EEEEESA_PSA_SC_NS0_8identityISA_EEEEvT1_mT2_T3_
; %bb.0:
	s_clause 0x2
	s_load_b32 s8, s[0:1], 0x20
	s_load_b128 s[4:7], s[0:1], 0x0
	s_load_b64 s[2:3], s[0:1], 0x10
	s_waitcnt lgkmcnt(0)
	s_lshl_b32 s7, s15, 12
	s_add_i32 s8, s8, -1
	s_add_u32 s0, s4, s7
	s_addc_u32 s1, s5, 0
	v_add_co_u32 v1, s0, s0, v0
	s_delay_alu instid0(VALU_DEP_1)
	v_add_co_ci_u32_e64 v2, null, s1, 0, s0
	s_mov_b32 s4, 0
	s_cmp_lg_u32 s15, s8
	s_mov_b32 s0, -1
	s_cbranch_scc0 .LBB6_2
; %bb.1:
	s_clause 0x3
	global_load_u8 v6, v[1:2], off
	global_load_u8 v7, v[1:2], off offset:1024
	global_load_u8 v8, v[1:2], off offset:2048
	;; [unrolled: 1-line block ×3, first 2 shown]
	s_add_u32 s0, s2, s7
	s_addc_u32 s1, s3, 0
	v_add_co_u32 v4, s0, s0, v0
	s_delay_alu instid0(VALU_DEP_1)
	v_add_co_ci_u32_e64 v5, null, s1, 0, s0
	s_mov_b32 s4, -1
	s_waitcnt vmcnt(3)
	global_store_b8 v[4:5], v6, off
	s_waitcnt vmcnt(2)
	global_store_b8 v[4:5], v7, off offset:1024
	s_waitcnt vmcnt(1)
	global_store_b8 v[4:5], v8, off offset:2048
	s_cbranch_execz .LBB6_3
	s_branch .LBB6_16
.LBB6_2:
                                        ; implicit-def: $vgpr3
	s_and_not1_b32 vcc_lo, exec_lo, s0
	s_cbranch_vccnz .LBB6_16
.LBB6_3:
	s_sub_i32 s4, s6, s7
                                        ; implicit-def: $vgpr4
	s_delay_alu instid0(SALU_CYCLE_1)
	v_cmp_gt_u32_e32 vcc_lo, s4, v0
	s_and_saveexec_b32 s0, vcc_lo
	s_cbranch_execz .LBB6_5
; %bb.4:
	global_load_u8 v4, v[1:2], off
.LBB6_5:
	s_or_b32 exec_lo, exec_lo, s0
	s_waitcnt vmcnt(0)
	v_or_b32_e32 v3, 0x400, v0
                                        ; implicit-def: $vgpr5
	s_delay_alu instid0(VALU_DEP_1) | instskip(NEXT) | instid1(VALU_DEP_1)
	v_cmp_gt_u32_e64 s0, s4, v3
	s_and_saveexec_b32 s1, s0
	s_cbranch_execz .LBB6_7
; %bb.6:
	global_load_u8 v5, v[1:2], off offset:1024
.LBB6_7:
	s_or_b32 exec_lo, exec_lo, s1
	v_or_b32_e32 v3, 0x800, v0
                                        ; implicit-def: $vgpr6
	s_delay_alu instid0(VALU_DEP_1) | instskip(NEXT) | instid1(VALU_DEP_1)
	v_cmp_gt_u32_e64 s1, s4, v3
	s_and_saveexec_b32 s5, s1
	s_cbranch_execz .LBB6_9
; %bb.8:
	global_load_u8 v6, v[1:2], off offset:2048
.LBB6_9:
	s_or_b32 exec_lo, exec_lo, s5
	v_or_b32_e32 v3, 0xc00, v0
	s_delay_alu instid0(VALU_DEP_1) | instskip(NEXT) | instid1(VALU_DEP_1)
	v_cmp_gt_u32_e64 s4, s4, v3
                                        ; implicit-def: $vgpr3
	s_and_saveexec_b32 s5, s4
	s_cbranch_execz .LBB6_11
; %bb.10:
	global_load_u8 v3, v[1:2], off offset:3072
.LBB6_11:
	s_or_b32 exec_lo, exec_lo, s5
	s_add_u32 s5, s2, s7
	s_addc_u32 s6, s3, 0
	v_add_co_u32 v1, s5, s5, v0
	s_delay_alu instid0(VALU_DEP_1) | instskip(SKIP_1) | instid1(SALU_CYCLE_1)
	v_add_co_ci_u32_e64 v2, null, s6, 0, s5
	s_and_saveexec_b32 s5, vcc_lo
	s_xor_b32 s5, exec_lo, s5
	s_cbranch_execnz .LBB6_19
; %bb.12:
	s_or_b32 exec_lo, exec_lo, s5
	s_and_saveexec_b32 s5, s0
	s_cbranch_execnz .LBB6_20
.LBB6_13:
	s_or_b32 exec_lo, exec_lo, s5
	s_and_saveexec_b32 s0, s1
	s_cbranch_execz .LBB6_15
.LBB6_14:
	s_waitcnt vmcnt(0)
	global_store_b8 v[1:2], v6, off offset:2048
.LBB6_15:
	s_or_b32 exec_lo, exec_lo, s0
.LBB6_16:
	s_and_saveexec_b32 s0, s4
	s_cbranch_execnz .LBB6_18
; %bb.17:
	s_nop 0
	s_sendmsg sendmsg(MSG_DEALLOC_VGPRS)
	s_endpgm
.LBB6_18:
	s_add_u32 s0, s2, s7
	s_addc_u32 s1, s3, 0
	v_add_co_u32 v0, s0, s0, v0
	s_delay_alu instid0(VALU_DEP_1)
	v_add_co_ci_u32_e64 v1, null, s1, 0, s0
	s_waitcnt vmcnt(0)
	global_store_b8 v[0:1], v3, off offset:3072
	s_nop 0
	s_sendmsg sendmsg(MSG_DEALLOC_VGPRS)
	s_endpgm
.LBB6_19:
	global_store_b8 v[1:2], v4, off
	s_or_b32 exec_lo, exec_lo, s5
	s_and_saveexec_b32 s5, s0
	s_cbranch_execz .LBB6_13
.LBB6_20:
	s_waitcnt vmcnt(0)
	global_store_b8 v[1:2], v5, off offset:1024
	s_or_b32 exec_lo, exec_lo, s5
	s_and_saveexec_b32 s0, s1
	s_cbranch_execnz .LBB6_14
	s_branch .LBB6_15
	.section	.rodata,"a",@progbits
	.p2align	6, 0x0
	.amdhsa_kernel _ZN7rocprim17ROCPRIM_304000_NS6detail16transform_kernelINS1_24wrapped_transform_configINS0_14default_configEN2at4cuda3cub6detail10OpaqueTypeILi1EEEEESA_PSA_SC_NS0_8identityISA_EEEEvT1_mT2_T3_
		.amdhsa_group_segment_fixed_size 0
		.amdhsa_private_segment_fixed_size 0
		.amdhsa_kernarg_size 288
		.amdhsa_user_sgpr_count 15
		.amdhsa_user_sgpr_dispatch_ptr 0
		.amdhsa_user_sgpr_queue_ptr 0
		.amdhsa_user_sgpr_kernarg_segment_ptr 1
		.amdhsa_user_sgpr_dispatch_id 0
		.amdhsa_user_sgpr_private_segment_size 0
		.amdhsa_wavefront_size32 1
		.amdhsa_uses_dynamic_stack 0
		.amdhsa_enable_private_segment 0
		.amdhsa_system_sgpr_workgroup_id_x 1
		.amdhsa_system_sgpr_workgroup_id_y 0
		.amdhsa_system_sgpr_workgroup_id_z 0
		.amdhsa_system_sgpr_workgroup_info 0
		.amdhsa_system_vgpr_workitem_id 0
		.amdhsa_next_free_vgpr 9
		.amdhsa_next_free_sgpr 16
		.amdhsa_reserve_vcc 1
		.amdhsa_float_round_mode_32 0
		.amdhsa_float_round_mode_16_64 0
		.amdhsa_float_denorm_mode_32 3
		.amdhsa_float_denorm_mode_16_64 3
		.amdhsa_dx10_clamp 1
		.amdhsa_ieee_mode 1
		.amdhsa_fp16_overflow 0
		.amdhsa_workgroup_processor_mode 1
		.amdhsa_memory_ordered 1
		.amdhsa_forward_progress 0
		.amdhsa_shared_vgpr_count 0
		.amdhsa_exception_fp_ieee_invalid_op 0
		.amdhsa_exception_fp_denorm_src 0
		.amdhsa_exception_fp_ieee_div_zero 0
		.amdhsa_exception_fp_ieee_overflow 0
		.amdhsa_exception_fp_ieee_underflow 0
		.amdhsa_exception_fp_ieee_inexact 0
		.amdhsa_exception_int_div_zero 0
	.end_amdhsa_kernel
	.section	.text._ZN7rocprim17ROCPRIM_304000_NS6detail16transform_kernelINS1_24wrapped_transform_configINS0_14default_configEN2at4cuda3cub6detail10OpaqueTypeILi1EEEEESA_PSA_SC_NS0_8identityISA_EEEEvT1_mT2_T3_,"axG",@progbits,_ZN7rocprim17ROCPRIM_304000_NS6detail16transform_kernelINS1_24wrapped_transform_configINS0_14default_configEN2at4cuda3cub6detail10OpaqueTypeILi1EEEEESA_PSA_SC_NS0_8identityISA_EEEEvT1_mT2_T3_,comdat
.Lfunc_end6:
	.size	_ZN7rocprim17ROCPRIM_304000_NS6detail16transform_kernelINS1_24wrapped_transform_configINS0_14default_configEN2at4cuda3cub6detail10OpaqueTypeILi1EEEEESA_PSA_SC_NS0_8identityISA_EEEEvT1_mT2_T3_, .Lfunc_end6-_ZN7rocprim17ROCPRIM_304000_NS6detail16transform_kernelINS1_24wrapped_transform_configINS0_14default_configEN2at4cuda3cub6detail10OpaqueTypeILi1EEEEESA_PSA_SC_NS0_8identityISA_EEEEvT1_mT2_T3_
                                        ; -- End function
	.section	.AMDGPU.csdata,"",@progbits
; Kernel info:
; codeLenInByte = 560
; NumSgprs: 18
; NumVgprs: 9
; ScratchSize: 0
; MemoryBound: 0
; FloatMode: 240
; IeeeMode: 1
; LDSByteSize: 0 bytes/workgroup (compile time only)
; SGPRBlocks: 2
; VGPRBlocks: 1
; NumSGPRsForWavesPerEU: 18
; NumVGPRsForWavesPerEU: 9
; Occupancy: 16
; WaveLimiterHint : 1
; COMPUTE_PGM_RSRC2:SCRATCH_EN: 0
; COMPUTE_PGM_RSRC2:USER_SGPR: 15
; COMPUTE_PGM_RSRC2:TRAP_HANDLER: 0
; COMPUTE_PGM_RSRC2:TGID_X_EN: 1
; COMPUTE_PGM_RSRC2:TGID_Y_EN: 0
; COMPUTE_PGM_RSRC2:TGID_Z_EN: 0
; COMPUTE_PGM_RSRC2:TIDIG_COMP_CNT: 0
	.section	.text._ZN7rocprim17ROCPRIM_304000_NS6detail45device_block_merge_mergepath_partition_kernelINS1_37wrapped_merge_sort_block_merge_configINS0_14default_configEiN2at4cuda3cub6detail10OpaqueTypeILi1EEEEEPijNS1_19radix_merge_compareILb1ELb1EiNS0_19identity_decomposerEEEEEvT0_T1_jPSH_T2_SH_,"axG",@progbits,_ZN7rocprim17ROCPRIM_304000_NS6detail45device_block_merge_mergepath_partition_kernelINS1_37wrapped_merge_sort_block_merge_configINS0_14default_configEiN2at4cuda3cub6detail10OpaqueTypeILi1EEEEEPijNS1_19radix_merge_compareILb1ELb1EiNS0_19identity_decomposerEEEEEvT0_T1_jPSH_T2_SH_,comdat
	.protected	_ZN7rocprim17ROCPRIM_304000_NS6detail45device_block_merge_mergepath_partition_kernelINS1_37wrapped_merge_sort_block_merge_configINS0_14default_configEiN2at4cuda3cub6detail10OpaqueTypeILi1EEEEEPijNS1_19radix_merge_compareILb1ELb1EiNS0_19identity_decomposerEEEEEvT0_T1_jPSH_T2_SH_ ; -- Begin function _ZN7rocprim17ROCPRIM_304000_NS6detail45device_block_merge_mergepath_partition_kernelINS1_37wrapped_merge_sort_block_merge_configINS0_14default_configEiN2at4cuda3cub6detail10OpaqueTypeILi1EEEEEPijNS1_19radix_merge_compareILb1ELb1EiNS0_19identity_decomposerEEEEEvT0_T1_jPSH_T2_SH_
	.globl	_ZN7rocprim17ROCPRIM_304000_NS6detail45device_block_merge_mergepath_partition_kernelINS1_37wrapped_merge_sort_block_merge_configINS0_14default_configEiN2at4cuda3cub6detail10OpaqueTypeILi1EEEEEPijNS1_19radix_merge_compareILb1ELb1EiNS0_19identity_decomposerEEEEEvT0_T1_jPSH_T2_SH_
	.p2align	8
	.type	_ZN7rocprim17ROCPRIM_304000_NS6detail45device_block_merge_mergepath_partition_kernelINS1_37wrapped_merge_sort_block_merge_configINS0_14default_configEiN2at4cuda3cub6detail10OpaqueTypeILi1EEEEEPijNS1_19radix_merge_compareILb1ELb1EiNS0_19identity_decomposerEEEEEvT0_T1_jPSH_T2_SH_,@function
_ZN7rocprim17ROCPRIM_304000_NS6detail45device_block_merge_mergepath_partition_kernelINS1_37wrapped_merge_sort_block_merge_configINS0_14default_configEiN2at4cuda3cub6detail10OpaqueTypeILi1EEEEEPijNS1_19radix_merge_compareILb1ELb1EiNS0_19identity_decomposerEEEEEvT0_T1_jPSH_T2_SH_: ; @_ZN7rocprim17ROCPRIM_304000_NS6detail45device_block_merge_mergepath_partition_kernelINS1_37wrapped_merge_sort_block_merge_configINS0_14default_configEiN2at4cuda3cub6detail10OpaqueTypeILi1EEEEEPijNS1_19radix_merge_compareILb1ELb1EiNS0_19identity_decomposerEEEEEvT0_T1_jPSH_T2_SH_
; %bb.0:
	s_load_b64 s[4:5], s[0:1], 0x8
	v_lshl_or_b32 v0, s15, 7, v0
	s_mov_b32 s2, exec_lo
	s_waitcnt lgkmcnt(0)
	s_delay_alu instid0(VALU_DEP_1)
	v_cmpx_gt_u32_e64 s5, v0
	s_cbranch_execz .LBB7_6
; %bb.1:
	s_load_b64 s[2:3], s[0:1], 0x18
	s_waitcnt lgkmcnt(0)
	s_lshr_b32 s5, s3, 9
	s_delay_alu instid0(SALU_CYCLE_1) | instskip(NEXT) | instid1(SALU_CYCLE_1)
	s_and_b32 s5, s5, 0x7ffffe
	s_sub_i32 s6, 0, s5
	s_add_i32 s5, s5, -1
	v_and_b32_e32 v1, s6, v0
	v_and_b32_e32 v5, s5, v0
	s_delay_alu instid0(VALU_DEP_2) | instskip(NEXT) | instid1(VALU_DEP_1)
	v_lshlrev_b32_e32 v1, 10, v1
	v_add_nc_u32_e32 v2, s3, v1
	s_delay_alu instid0(VALU_DEP_1) | instskip(SKIP_1) | instid1(VALU_DEP_2)
	v_min_u32_e32 v4, s4, v2
	v_min_u32_e32 v2, s4, v1
	v_add_nc_u32_e32 v3, s3, v4
	s_mov_b32 s3, exec_lo
	s_delay_alu instid0(VALU_DEP_1) | instskip(SKIP_1) | instid1(VALU_DEP_2)
	v_min_u32_e32 v1, s4, v3
	v_lshlrev_b32_e32 v3, 10, v5
	v_sub_nc_u32_e32 v5, v1, v2
	v_sub_nc_u32_e32 v6, v1, v4
	s_delay_alu instid0(VALU_DEP_2) | instskip(SKIP_1) | instid1(VALU_DEP_2)
	v_min_u32_e32 v1, v5, v3
	v_sub_nc_u32_e32 v3, v4, v2
	v_sub_nc_u32_e64 v6, v1, v6 clamp
	s_delay_alu instid0(VALU_DEP_2) | instskip(NEXT) | instid1(VALU_DEP_1)
	v_min_u32_e32 v7, v1, v3
	v_cmpx_lt_u32_e64 v6, v7
	s_cbranch_execz .LBB7_5
; %bb.2:
	s_load_b64 s[4:5], s[0:1], 0x0
	v_mov_b32_e32 v5, 0
	s_delay_alu instid0(VALU_DEP_1) | instskip(SKIP_1) | instid1(VALU_DEP_2)
	v_mov_b32_e32 v3, v5
	v_lshlrev_b64 v[10:11], 2, v[4:5]
	v_lshlrev_b64 v[8:9], 2, v[2:3]
	s_waitcnt lgkmcnt(0)
	s_delay_alu instid0(VALU_DEP_1) | instskip(NEXT) | instid1(VALU_DEP_2)
	v_add_co_u32 v3, vcc_lo, s4, v8
	v_add_co_ci_u32_e32 v8, vcc_lo, s5, v9, vcc_lo
	s_delay_alu instid0(VALU_DEP_4)
	v_add_co_u32 v9, vcc_lo, s4, v10
	v_add_co_ci_u32_e32 v10, vcc_lo, s5, v11, vcc_lo
	s_mov_b32 s4, 0
	.p2align	6
.LBB7_3:                                ; =>This Inner Loop Header: Depth=1
	v_add_nc_u32_e32 v4, v7, v6
	v_mov_b32_e32 v12, v5
	s_delay_alu instid0(VALU_DEP_2) | instskip(NEXT) | instid1(VALU_DEP_1)
	v_lshrrev_b32_e32 v4, 1, v4
	v_xad_u32 v11, v4, -1, v1
	v_lshlrev_b64 v[13:14], 2, v[4:5]
	s_delay_alu instid0(VALU_DEP_2) | instskip(NEXT) | instid1(VALU_DEP_2)
	v_lshlrev_b64 v[11:12], 2, v[11:12]
	v_add_co_u32 v13, vcc_lo, v3, v13
	s_delay_alu instid0(VALU_DEP_3) | instskip(NEXT) | instid1(VALU_DEP_3)
	v_add_co_ci_u32_e32 v14, vcc_lo, v8, v14, vcc_lo
	v_add_co_u32 v11, vcc_lo, v9, v11
	s_delay_alu instid0(VALU_DEP_4)
	v_add_co_ci_u32_e32 v12, vcc_lo, v10, v12, vcc_lo
	s_clause 0x1
	global_load_b32 v13, v[13:14], off
	global_load_b32 v11, v[11:12], off
	s_waitcnt vmcnt(1)
	v_and_b32_e32 v12, s2, v13
	s_waitcnt vmcnt(0)
	v_and_b32_e32 v11, s2, v11
	v_add_nc_u32_e32 v13, 1, v4
	s_delay_alu instid0(VALU_DEP_2) | instskip(NEXT) | instid1(VALU_DEP_2)
	v_cmp_gt_i32_e32 vcc_lo, v11, v12
	v_dual_cndmask_b32 v7, v7, v4 :: v_dual_cndmask_b32 v6, v13, v6
	s_delay_alu instid0(VALU_DEP_1) | instskip(SKIP_1) | instid1(SALU_CYCLE_1)
	v_cmp_ge_u32_e32 vcc_lo, v6, v7
	s_or_b32 s4, vcc_lo, s4
	s_and_not1_b32 exec_lo, exec_lo, s4
	s_cbranch_execnz .LBB7_3
; %bb.4:
	s_or_b32 exec_lo, exec_lo, s4
.LBB7_5:
	s_delay_alu instid0(SALU_CYCLE_1) | instskip(SKIP_2) | instid1(VALU_DEP_1)
	s_or_b32 exec_lo, exec_lo, s3
	s_load_b64 s[0:1], s[0:1], 0x10
	v_dual_mov_b32 v1, 0 :: v_dual_add_nc_u32 v2, v6, v2
	v_lshlrev_b64 v[0:1], 2, v[0:1]
	s_waitcnt lgkmcnt(0)
	s_delay_alu instid0(VALU_DEP_1) | instskip(NEXT) | instid1(VALU_DEP_2)
	v_add_co_u32 v0, vcc_lo, s0, v0
	v_add_co_ci_u32_e32 v1, vcc_lo, s1, v1, vcc_lo
	global_store_b32 v[0:1], v2, off
.LBB7_6:
	s_nop 0
	s_sendmsg sendmsg(MSG_DEALLOC_VGPRS)
	s_endpgm
	.section	.rodata,"a",@progbits
	.p2align	6, 0x0
	.amdhsa_kernel _ZN7rocprim17ROCPRIM_304000_NS6detail45device_block_merge_mergepath_partition_kernelINS1_37wrapped_merge_sort_block_merge_configINS0_14default_configEiN2at4cuda3cub6detail10OpaqueTypeILi1EEEEEPijNS1_19radix_merge_compareILb1ELb1EiNS0_19identity_decomposerEEEEEvT0_T1_jPSH_T2_SH_
		.amdhsa_group_segment_fixed_size 0
		.amdhsa_private_segment_fixed_size 0
		.amdhsa_kernarg_size 32
		.amdhsa_user_sgpr_count 15
		.amdhsa_user_sgpr_dispatch_ptr 0
		.amdhsa_user_sgpr_queue_ptr 0
		.amdhsa_user_sgpr_kernarg_segment_ptr 1
		.amdhsa_user_sgpr_dispatch_id 0
		.amdhsa_user_sgpr_private_segment_size 0
		.amdhsa_wavefront_size32 1
		.amdhsa_uses_dynamic_stack 0
		.amdhsa_enable_private_segment 0
		.amdhsa_system_sgpr_workgroup_id_x 1
		.amdhsa_system_sgpr_workgroup_id_y 0
		.amdhsa_system_sgpr_workgroup_id_z 0
		.amdhsa_system_sgpr_workgroup_info 0
		.amdhsa_system_vgpr_workitem_id 0
		.amdhsa_next_free_vgpr 15
		.amdhsa_next_free_sgpr 16
		.amdhsa_reserve_vcc 1
		.amdhsa_float_round_mode_32 0
		.amdhsa_float_round_mode_16_64 0
		.amdhsa_float_denorm_mode_32 3
		.amdhsa_float_denorm_mode_16_64 3
		.amdhsa_dx10_clamp 1
		.amdhsa_ieee_mode 1
		.amdhsa_fp16_overflow 0
		.amdhsa_workgroup_processor_mode 1
		.amdhsa_memory_ordered 1
		.amdhsa_forward_progress 0
		.amdhsa_shared_vgpr_count 0
		.amdhsa_exception_fp_ieee_invalid_op 0
		.amdhsa_exception_fp_denorm_src 0
		.amdhsa_exception_fp_ieee_div_zero 0
		.amdhsa_exception_fp_ieee_overflow 0
		.amdhsa_exception_fp_ieee_underflow 0
		.amdhsa_exception_fp_ieee_inexact 0
		.amdhsa_exception_int_div_zero 0
	.end_amdhsa_kernel
	.section	.text._ZN7rocprim17ROCPRIM_304000_NS6detail45device_block_merge_mergepath_partition_kernelINS1_37wrapped_merge_sort_block_merge_configINS0_14default_configEiN2at4cuda3cub6detail10OpaqueTypeILi1EEEEEPijNS1_19radix_merge_compareILb1ELb1EiNS0_19identity_decomposerEEEEEvT0_T1_jPSH_T2_SH_,"axG",@progbits,_ZN7rocprim17ROCPRIM_304000_NS6detail45device_block_merge_mergepath_partition_kernelINS1_37wrapped_merge_sort_block_merge_configINS0_14default_configEiN2at4cuda3cub6detail10OpaqueTypeILi1EEEEEPijNS1_19radix_merge_compareILb1ELb1EiNS0_19identity_decomposerEEEEEvT0_T1_jPSH_T2_SH_,comdat
.Lfunc_end7:
	.size	_ZN7rocprim17ROCPRIM_304000_NS6detail45device_block_merge_mergepath_partition_kernelINS1_37wrapped_merge_sort_block_merge_configINS0_14default_configEiN2at4cuda3cub6detail10OpaqueTypeILi1EEEEEPijNS1_19radix_merge_compareILb1ELb1EiNS0_19identity_decomposerEEEEEvT0_T1_jPSH_T2_SH_, .Lfunc_end7-_ZN7rocprim17ROCPRIM_304000_NS6detail45device_block_merge_mergepath_partition_kernelINS1_37wrapped_merge_sort_block_merge_configINS0_14default_configEiN2at4cuda3cub6detail10OpaqueTypeILi1EEEEEPijNS1_19radix_merge_compareILb1ELb1EiNS0_19identity_decomposerEEEEEvT0_T1_jPSH_T2_SH_
                                        ; -- End function
	.section	.AMDGPU.csdata,"",@progbits
; Kernel info:
; codeLenInByte = 480
; NumSgprs: 18
; NumVgprs: 15
; ScratchSize: 0
; MemoryBound: 0
; FloatMode: 240
; IeeeMode: 1
; LDSByteSize: 0 bytes/workgroup (compile time only)
; SGPRBlocks: 2
; VGPRBlocks: 1
; NumSGPRsForWavesPerEU: 18
; NumVGPRsForWavesPerEU: 15
; Occupancy: 16
; WaveLimiterHint : 0
; COMPUTE_PGM_RSRC2:SCRATCH_EN: 0
; COMPUTE_PGM_RSRC2:USER_SGPR: 15
; COMPUTE_PGM_RSRC2:TRAP_HANDLER: 0
; COMPUTE_PGM_RSRC2:TGID_X_EN: 1
; COMPUTE_PGM_RSRC2:TGID_Y_EN: 0
; COMPUTE_PGM_RSRC2:TGID_Z_EN: 0
; COMPUTE_PGM_RSRC2:TIDIG_COMP_CNT: 0
	.section	.text._ZN7rocprim17ROCPRIM_304000_NS6detail35device_block_merge_mergepath_kernelINS1_37wrapped_merge_sort_block_merge_configINS0_14default_configEiN2at4cuda3cub6detail10OpaqueTypeILi1EEEEEPiSC_PSA_SD_jNS1_19radix_merge_compareILb1ELb1EiNS0_19identity_decomposerEEEEEvT0_T1_T2_T3_T4_SL_jT5_PKSL_NS1_7vsmem_tE,"axG",@progbits,_ZN7rocprim17ROCPRIM_304000_NS6detail35device_block_merge_mergepath_kernelINS1_37wrapped_merge_sort_block_merge_configINS0_14default_configEiN2at4cuda3cub6detail10OpaqueTypeILi1EEEEEPiSC_PSA_SD_jNS1_19radix_merge_compareILb1ELb1EiNS0_19identity_decomposerEEEEEvT0_T1_T2_T3_T4_SL_jT5_PKSL_NS1_7vsmem_tE,comdat
	.protected	_ZN7rocprim17ROCPRIM_304000_NS6detail35device_block_merge_mergepath_kernelINS1_37wrapped_merge_sort_block_merge_configINS0_14default_configEiN2at4cuda3cub6detail10OpaqueTypeILi1EEEEEPiSC_PSA_SD_jNS1_19radix_merge_compareILb1ELb1EiNS0_19identity_decomposerEEEEEvT0_T1_T2_T3_T4_SL_jT5_PKSL_NS1_7vsmem_tE ; -- Begin function _ZN7rocprim17ROCPRIM_304000_NS6detail35device_block_merge_mergepath_kernelINS1_37wrapped_merge_sort_block_merge_configINS0_14default_configEiN2at4cuda3cub6detail10OpaqueTypeILi1EEEEEPiSC_PSA_SD_jNS1_19radix_merge_compareILb1ELb1EiNS0_19identity_decomposerEEEEEvT0_T1_T2_T3_T4_SL_jT5_PKSL_NS1_7vsmem_tE
	.globl	_ZN7rocprim17ROCPRIM_304000_NS6detail35device_block_merge_mergepath_kernelINS1_37wrapped_merge_sort_block_merge_configINS0_14default_configEiN2at4cuda3cub6detail10OpaqueTypeILi1EEEEEPiSC_PSA_SD_jNS1_19radix_merge_compareILb1ELb1EiNS0_19identity_decomposerEEEEEvT0_T1_T2_T3_T4_SL_jT5_PKSL_NS1_7vsmem_tE
	.p2align	8
	.type	_ZN7rocprim17ROCPRIM_304000_NS6detail35device_block_merge_mergepath_kernelINS1_37wrapped_merge_sort_block_merge_configINS0_14default_configEiN2at4cuda3cub6detail10OpaqueTypeILi1EEEEEPiSC_PSA_SD_jNS1_19radix_merge_compareILb1ELb1EiNS0_19identity_decomposerEEEEEvT0_T1_T2_T3_T4_SL_jT5_PKSL_NS1_7vsmem_tE,@function
_ZN7rocprim17ROCPRIM_304000_NS6detail35device_block_merge_mergepath_kernelINS1_37wrapped_merge_sort_block_merge_configINS0_14default_configEiN2at4cuda3cub6detail10OpaqueTypeILi1EEEEEPiSC_PSA_SD_jNS1_19radix_merge_compareILb1ELb1EiNS0_19identity_decomposerEEEEEvT0_T1_T2_T3_T4_SL_jT5_PKSL_NS1_7vsmem_tE: ; @_ZN7rocprim17ROCPRIM_304000_NS6detail35device_block_merge_mergepath_kernelINS1_37wrapped_merge_sort_block_merge_configINS0_14default_configEiN2at4cuda3cub6detail10OpaqueTypeILi1EEEEEPiSC_PSA_SD_jNS1_19radix_merge_compareILb1ELb1EiNS0_19identity_decomposerEEEEEvT0_T1_T2_T3_T4_SL_jT5_PKSL_NS1_7vsmem_tE
; %bb.0:
	s_clause 0x1
	s_load_b64 s[24:25], s[0:1], 0x40
	s_load_b128 s[16:19], s[0:1], 0x20
	s_add_u32 s22, s0, 64
	s_addc_u32 s23, s1, 0
	s_waitcnt lgkmcnt(0)
	s_mul_i32 s2, s25, s15
	s_delay_alu instid0(SALU_CYCLE_1) | instskip(NEXT) | instid1(SALU_CYCLE_1)
	s_add_i32 s2, s2, s14
	s_mul_i32 s2, s2, s24
	s_delay_alu instid0(SALU_CYCLE_1) | instskip(NEXT) | instid1(SALU_CYCLE_1)
	s_add_i32 s2, s2, s13
	s_cmp_ge_u32 s2, s18
	s_cbranch_scc1 .LBB8_69
; %bb.1:
	s_load_b64 s[4:5], s[0:1], 0x30
	s_lshr_b32 s28, s16, 10
	s_mov_b32 s15, 0
	s_cmp_lg_u32 s2, s28
	s_mov_b32 s3, s15
	s_cselect_b32 s18, -1, 0
	s_lshl_b64 s[6:7], s[2:3], 2
	v_mov_b32_e32 v2, 0
	s_mov_b32 s21, s15
	v_lshlrev_b32_e32 v9, 2, v0
	s_waitcnt lgkmcnt(0)
	s_add_u32 s4, s4, s6
	s_addc_u32 s5, s5, s7
	s_lshl_b32 s12, s2, 10
	s_load_b64 s[26:27], s[4:5], 0x0
	s_load_b256 s[4:11], s[0:1], 0x0
	s_lshr_b32 s0, s17, 9
	global_load_b32 v1, v2, s[22:23] offset:14
	s_and_b32 s0, s0, 0x7ffffe
	s_delay_alu instid0(SALU_CYCLE_1) | instskip(NEXT) | instid1(SALU_CYCLE_1)
	s_sub_i32 s0, 0, s0
	s_and_b32 s1, s2, s0
	s_or_b32 s0, s2, s0
	s_lshl_b32 s3, s1, 11
	s_lshl_b32 s1, s1, 10
	s_add_i32 s3, s3, s17
	s_sub_i32 s14, s12, s1
	s_sub_i32 s1, s3, s1
	s_add_i32 s3, s3, s14
	s_min_u32 s25, s16, s1
	s_add_i32 s1, s1, s17
	s_waitcnt lgkmcnt(0)
	s_sub_i32 s14, s3, s26
	s_sub_i32 s3, s3, s27
	s_min_u32 s20, s16, s14
	s_addk_i32 s3, 0x400
	s_cmp_eq_u32 s0, -1
	s_mov_b32 s14, s26
	s_cselect_b32 s3, s1, s3
	s_cselect_b32 s17, s25, s27
	s_min_u32 s3, s3, s16
	s_lshl_b64 s[0:1], s[14:15], 2
	s_sub_i32 s17, s17, s26
	s_sub_i32 s25, s3, s20
	s_add_u32 s26, s4, s0
	s_addc_u32 s27, s5, s1
	s_lshl_b64 s[0:1], s[20:21], 2
	v_cmp_gt_u32_e32 vcc_lo, s17, v0
	s_add_u32 s3, s4, s0
	s_addc_u32 s4, s5, s1
	s_cmp_lt_u32 s13, s24
	s_cselect_b32 s0, 12, 18
	s_delay_alu instid0(SALU_CYCLE_1)
	s_add_u32 s0, s22, s0
	s_addc_u32 s1, s23, 0
	s_cmp_eq_u32 s2, s28
	global_load_u16 v3, v2, s[0:1]
	s_mov_b32 s0, -1
	s_waitcnt vmcnt(1)
	v_lshrrev_b32_e32 v4, 16, v1
	v_and_b32_e32 v1, 0xffff, v1
	s_delay_alu instid0(VALU_DEP_1) | instskip(SKIP_1) | instid1(VALU_DEP_1)
	v_mul_lo_u32 v1, v1, v4
	s_waitcnt vmcnt(0)
	v_mul_lo_u32 v10, v1, v3
	s_delay_alu instid0(VALU_DEP_1) | instskip(NEXT) | instid1(VALU_DEP_1)
	v_add_nc_u32_e32 v7, v10, v0
	v_add_nc_u32_e32 v5, v7, v10
	s_cbranch_scc1 .LBB8_3
; %bb.2:
	v_subrev_nc_u32_e32 v1, s17, v0
	v_add_co_u32 v6, s0, s26, v9
	s_delay_alu instid0(VALU_DEP_1) | instskip(NEXT) | instid1(VALU_DEP_3)
	v_add_co_ci_u32_e64 v13, null, s27, 0, s0
	v_lshlrev_b64 v[3:4], 2, v[1:2]
	v_subrev_nc_u32_e32 v1, s17, v7
	s_add_i32 s5, s25, s17
	s_delay_alu instid0(VALU_DEP_2) | instskip(SKIP_1) | instid1(VALU_DEP_4)
	v_add_co_u32 v15, s0, s3, v3
	v_mov_b32_e32 v8, v2
	v_add_co_ci_u32_e64 v14, s0, s4, v4, s0
	v_lshlrev_b64 v[3:4], 2, v[1:2]
	v_subrev_nc_u32_e32 v1, s17, v5
	s_delay_alu instid0(VALU_DEP_3) | instskip(SKIP_1) | instid1(VALU_DEP_3)
	v_dual_cndmask_b32 v14, v14, v13 :: v_dual_cndmask_b32 v13, v15, v6
	v_lshlrev_b64 v[11:12], 2, v[7:8]
	v_lshlrev_b64 v[15:16], 2, v[1:2]
	v_add_nc_u32_e32 v1, v5, v10
	s_delay_alu instid0(VALU_DEP_3) | instskip(NEXT) | instid1(VALU_DEP_4)
	v_add_co_u32 v8, vcc_lo, s26, v11
	v_add_co_ci_u32_e32 v17, vcc_lo, s27, v12, vcc_lo
	v_add_co_u32 v18, vcc_lo, s3, v3
	s_delay_alu instid0(VALU_DEP_4) | instskip(SKIP_3) | instid1(VALU_DEP_1)
	v_lshlrev_b64 v[11:12], 2, v[1:2]
	v_add_co_ci_u32_e32 v19, vcc_lo, s4, v4, vcc_lo
	v_cmp_gt_u32_e32 vcc_lo, s17, v7
	v_mov_b32_e32 v6, v2
	v_lshlrev_b64 v[3:4], 2, v[5:6]
	v_add_co_u32 v6, s0, s26, v11
	s_delay_alu instid0(VALU_DEP_1)
	v_add_co_ci_u32_e64 v20, s0, s27, v12, s0
	v_cmp_gt_u32_e64 s0, s17, v1
	v_subrev_nc_u32_e32 v1, s17, v1
	v_add_co_u32 v11, s1, s26, v3
	v_cndmask_b32_e32 v3, v19, v17, vcc_lo
	v_add_co_ci_u32_e64 v4, s1, s27, v4, s1
	s_delay_alu instid0(VALU_DEP_4) | instskip(SKIP_1) | instid1(VALU_DEP_1)
	v_lshlrev_b64 v[1:2], 2, v[1:2]
	v_add_co_u32 v15, s1, s3, v15
	v_add_co_ci_u32_e64 v12, s1, s4, v16, s1
	v_cmp_gt_u32_e64 s1, s17, v5
	s_delay_alu instid0(VALU_DEP_4) | instskip(NEXT) | instid1(VALU_DEP_1)
	v_add_co_u32 v1, s2, s3, v1
	v_add_co_ci_u32_e64 v16, s2, s4, v2, s2
	v_cndmask_b32_e32 v2, v18, v8, vcc_lo
	s_delay_alu instid0(VALU_DEP_4) | instskip(SKIP_1) | instid1(VALU_DEP_4)
	v_cndmask_b32_e64 v12, v12, v4, s1
	v_cndmask_b32_e64 v11, v15, v11, s1
	;; [unrolled: 1-line block ×4, first 2 shown]
	global_load_b32 v1, v[13:14], off
	global_load_b32 v2, v[2:3], off
	;; [unrolled: 1-line block ×4, first 2 shown]
	s_mov_b32 s0, s15
	s_delay_alu instid0(SALU_CYCLE_1)
	s_and_not1_b32 vcc_lo, exec_lo, s0
	s_cbranch_vccz .LBB8_4
	s_branch .LBB8_11
.LBB8_3:
                                        ; implicit-def: $vgpr1_vgpr2_vgpr3_vgpr4
                                        ; implicit-def: $sgpr5
	s_and_not1_b32 vcc_lo, exec_lo, s0
	s_cbranch_vccnz .LBB8_11
.LBB8_4:
	s_add_i32 s5, s25, s17
	s_mov_b32 s0, exec_lo
                                        ; implicit-def: $vgpr1_vgpr2_vgpr3_vgpr4
	v_cmpx_gt_u32_e64 s5, v0
	s_cbranch_execnz .LBB8_70
; %bb.5:
	s_or_b32 exec_lo, exec_lo, s0
	s_delay_alu instid0(SALU_CYCLE_1)
	s_mov_b32 s1, exec_lo
	v_cmpx_gt_u32_e64 s5, v7
	s_cbranch_execnz .LBB8_71
.LBB8_6:
	s_or_b32 exec_lo, exec_lo, s1
	s_delay_alu instid0(SALU_CYCLE_1)
	s_mov_b32 s0, exec_lo
	v_cmpx_gt_u32_e64 s5, v5
	s_cbranch_execz .LBB8_8
.LBB8_7:
	v_mov_b32_e32 v6, 0
	v_subrev_nc_u32_e32 v7, s17, v5
	s_delay_alu instid0(VALU_DEP_2) | instskip(SKIP_1) | instid1(VALU_DEP_2)
	v_mov_b32_e32 v8, v6
	v_lshlrev_b64 v[11:12], 2, v[5:6]
	v_lshlrev_b64 v[6:7], 2, v[7:8]
	s_waitcnt vmcnt(1)
	s_delay_alu instid0(VALU_DEP_2) | instskip(NEXT) | instid1(VALU_DEP_3)
	v_add_co_u32 v3, vcc_lo, s26, v11
	v_add_co_ci_u32_e32 v8, vcc_lo, s27, v12, vcc_lo
	s_delay_alu instid0(VALU_DEP_3) | instskip(NEXT) | instid1(VALU_DEP_4)
	v_add_co_u32 v6, vcc_lo, s3, v6
	v_add_co_ci_u32_e32 v7, vcc_lo, s4, v7, vcc_lo
	v_cmp_gt_u32_e32 vcc_lo, s17, v5
	s_delay_alu instid0(VALU_DEP_2)
	v_dual_cndmask_b32 v7, v7, v8 :: v_dual_cndmask_b32 v6, v6, v3
	global_load_b32 v3, v[6:7], off
.LBB8_8:
	s_or_b32 exec_lo, exec_lo, s0
	v_add_nc_u32_e32 v5, v5, v10
	s_mov_b32 s1, exec_lo
	s_delay_alu instid0(VALU_DEP_1)
	v_cmpx_gt_u32_e64 s5, v5
	s_cbranch_execz .LBB8_10
; %bb.9:
	v_mov_b32_e32 v6, 0
	s_delay_alu instid0(VALU_DEP_1) | instskip(NEXT) | instid1(VALU_DEP_1)
	v_lshlrev_b64 v[7:8], 2, v[5:6]
	v_add_co_u32 v7, vcc_lo, s26, v7
	s_delay_alu instid0(VALU_DEP_2) | instskip(SKIP_3) | instid1(VALU_DEP_1)
	v_add_co_ci_u32_e32 v8, vcc_lo, s27, v8, vcc_lo
	v_cmp_gt_u32_e32 vcc_lo, s17, v5
	v_subrev_nc_u32_e32 v5, s17, v5
	s_waitcnt vmcnt(0)
	v_lshlrev_b64 v[4:5], 2, v[5:6]
	s_delay_alu instid0(VALU_DEP_1) | instskip(NEXT) | instid1(VALU_DEP_1)
	v_add_co_u32 v4, s0, s3, v4
	v_add_co_ci_u32_e64 v5, s0, s4, v5, s0
	s_delay_alu instid0(VALU_DEP_1)
	v_dual_cndmask_b32 v4, v4, v7 :: v_dual_cndmask_b32 v5, v5, v8
	global_load_b32 v4, v[4:5], off
.LBB8_10:
	s_or_b32 exec_lo, exec_lo, s1
.LBB8_11:
	v_min_u32_e32 v6, s5, v9
	s_mov_b32 s0, exec_lo
	s_waitcnt vmcnt(0)
	ds_store_2addr_stride64_b32 v9, v1, v2 offset1:4
	ds_store_2addr_stride64_b32 v9, v3, v4 offset0:8 offset1:12
	s_waitcnt lgkmcnt(0)
	s_barrier
	v_sub_nc_u32_e64 v5, v6, s25 clamp
	v_min_u32_e32 v7, s17, v6
	buffer_gl0_inv
	v_cmpx_lt_u32_e64 v5, v7
	s_cbranch_execz .LBB8_15
; %bb.12:
	v_lshlrev_b32_e32 v8, 2, v6
	s_mov_b32 s1, 0
	s_delay_alu instid0(VALU_DEP_1)
	v_lshl_add_u32 v8, s17, 2, v8
	.p2align	6
.LBB8_13:                               ; =>This Inner Loop Header: Depth=1
	v_add_nc_u32_e32 v10, v7, v5
	s_delay_alu instid0(VALU_DEP_1) | instskip(NEXT) | instid1(VALU_DEP_1)
	v_lshrrev_b32_e32 v10, 1, v10
	v_not_b32_e32 v11, v10
	v_add_nc_u32_e32 v13, 1, v10
	v_lshlrev_b32_e32 v12, 2, v10
	s_delay_alu instid0(VALU_DEP_3)
	v_lshl_add_u32 v11, v11, 2, v8
	ds_load_b32 v12, v12
	ds_load_b32 v11, v11
	s_waitcnt lgkmcnt(1)
	v_and_b32_e32 v12, s19, v12
	s_waitcnt lgkmcnt(0)
	v_and_b32_e32 v11, s19, v11
	s_delay_alu instid0(VALU_DEP_1) | instskip(SKIP_2) | instid1(VALU_DEP_1)
	v_cmp_gt_i32_e32 vcc_lo, v11, v12
	v_cndmask_b32_e32 v7, v7, v10, vcc_lo
	v_cndmask_b32_e32 v5, v13, v5, vcc_lo
	v_cmp_ge_u32_e32 vcc_lo, v5, v7
	s_or_b32 s1, vcc_lo, s1
	s_delay_alu instid0(SALU_CYCLE_1)
	s_and_not1_b32 exec_lo, exec_lo, s1
	s_cbranch_execnz .LBB8_13
; %bb.14:
	s_or_b32 exec_lo, exec_lo, s1
.LBB8_15:
	s_delay_alu instid0(SALU_CYCLE_1) | instskip(SKIP_2) | instid1(VALU_DEP_2)
	s_or_b32 exec_lo, exec_lo, s0
	v_sub_nc_u32_e32 v6, v6, v5
	v_cmp_ge_u32_e32 vcc_lo, s17, v5
                                        ; implicit-def: $vgpr11
                                        ; implicit-def: $vgpr14
                                        ; implicit-def: $vgpr13
                                        ; implicit-def: $vgpr12
	v_add_nc_u32_e32 v6, s17, v6
	s_delay_alu instid0(VALU_DEP_1) | instskip(NEXT) | instid1(VALU_DEP_1)
	v_cmp_ge_u32_e64 s0, s5, v6
	s_or_b32 s0, vcc_lo, s0
	s_delay_alu instid0(SALU_CYCLE_1)
	s_and_saveexec_b32 s13, s0
	s_cbranch_execz .LBB8_21
; %bb.16:
	v_cmp_gt_u32_e32 vcc_lo, s17, v5
                                        ; implicit-def: $vgpr1
	s_and_saveexec_b32 s0, vcc_lo
	s_cbranch_execz .LBB8_18
; %bb.17:
	v_lshlrev_b32_e32 v1, 2, v5
	ds_load_b32 v1, v1
.LBB8_18:
	s_or_b32 exec_lo, exec_lo, s0
	v_cmp_le_u32_e64 s0, s5, v6
	s_mov_b32 s2, exec_lo
                                        ; implicit-def: $vgpr2
	v_cmpx_gt_u32_e64 s5, v6
	s_cbranch_execz .LBB8_20
; %bb.19:
	v_lshlrev_b32_e32 v2, 2, v6
	ds_load_b32 v2, v2
.LBB8_20:
	s_or_b32 exec_lo, exec_lo, s2
	s_waitcnt lgkmcnt(0)
	v_and_b32_e32 v3, s19, v2
	v_and_b32_e32 v4, s19, v1
	s_delay_alu instid0(VALU_DEP_1) | instskip(SKIP_1) | instid1(VALU_DEP_2)
	v_cmp_le_i32_e64 s1, v3, v4
	v_mov_b32_e32 v3, s17
	s_and_b32 s1, vcc_lo, s1
	s_delay_alu instid0(SALU_CYCLE_1) | instskip(SKIP_1) | instid1(VALU_DEP_1)
	s_or_b32 vcc_lo, s0, s1
	v_cndmask_b32_e32 v12, v6, v5, vcc_lo
	v_dual_cndmask_b32 v4, s5, v3 :: v_dual_add_nc_u32 v7, 1, v12
	s_delay_alu instid0(VALU_DEP_1) | instskip(NEXT) | instid1(VALU_DEP_1)
	v_dual_cndmask_b32 v5, v5, v7 :: v_dual_add_nc_u32 v4, -1, v4
	v_min_u32_e32 v4, v7, v4
	v_cndmask_b32_e32 v6, v7, v6, vcc_lo
	s_delay_alu instid0(VALU_DEP_3) | instskip(NEXT) | instid1(VALU_DEP_3)
	v_cmp_gt_u32_e64 s0, s17, v5
	v_lshlrev_b32_e32 v4, 2, v4
	s_delay_alu instid0(VALU_DEP_3) | instskip(SKIP_4) | instid1(VALU_DEP_1)
	v_cmp_le_u32_e64 s2, s5, v6
	ds_load_b32 v4, v4
	s_waitcnt lgkmcnt(0)
	v_cndmask_b32_e32 v8, v4, v2, vcc_lo
	v_dual_cndmask_b32 v4, v1, v4 :: v_dual_cndmask_b32 v1, v2, v1
	v_and_b32_e32 v11, s19, v4
	s_delay_alu instid0(VALU_DEP_3) | instskip(NEXT) | instid1(VALU_DEP_1)
	v_and_b32_e32 v10, s19, v8
	v_cmp_le_i32_e64 s1, v10, v11
	s_delay_alu instid0(VALU_DEP_1) | instskip(NEXT) | instid1(SALU_CYCLE_1)
	s_and_b32 s0, s0, s1
	s_or_b32 s0, s2, s0
	s_delay_alu instid0(SALU_CYCLE_1) | instskip(SKIP_1) | instid1(VALU_DEP_2)
	v_cndmask_b32_e64 v13, v6, v5, s0
	v_cndmask_b32_e64 v7, s5, v3, s0
	v_add_nc_u32_e32 v10, 1, v13
	s_delay_alu instid0(VALU_DEP_2) | instskip(SKIP_1) | instid1(VALU_DEP_3)
	v_add_nc_u32_e32 v7, -1, v7
	v_cndmask_b32_e64 v2, v8, v4, s0
	v_cndmask_b32_e64 v5, v5, v10, s0
	s_delay_alu instid0(VALU_DEP_3) | instskip(NEXT) | instid1(VALU_DEP_2)
	v_min_u32_e32 v7, v10, v7
	v_cmp_gt_u32_e64 s1, s17, v5
	s_delay_alu instid0(VALU_DEP_2)
	v_lshlrev_b32_e32 v7, 2, v7
	v_cndmask_b32_e64 v6, v10, v6, s0
	ds_load_b32 v7, v7
	v_cmp_le_u32_e64 s3, s5, v6
	s_waitcnt lgkmcnt(0)
	v_cndmask_b32_e64 v11, v7, v8, s0
	v_cndmask_b32_e64 v7, v4, v7, s0
	s_delay_alu instid0(VALU_DEP_2) | instskip(NEXT) | instid1(VALU_DEP_2)
	v_and_b32_e32 v14, s19, v11
	v_and_b32_e32 v15, s19, v7
	s_delay_alu instid0(VALU_DEP_1) | instskip(NEXT) | instid1(VALU_DEP_1)
	v_cmp_le_i32_e64 s2, v14, v15
	s_and_b32 s1, s1, s2
	s_delay_alu instid0(SALU_CYCLE_1) | instskip(NEXT) | instid1(SALU_CYCLE_1)
	s_or_b32 s1, s3, s1
	v_cndmask_b32_e64 v14, v6, v5, s1
	v_cndmask_b32_e64 v3, s5, v3, s1
	s_delay_alu instid0(VALU_DEP_2) | instskip(NEXT) | instid1(VALU_DEP_2)
	v_add_nc_u32_e32 v10, 1, v14
	v_add_nc_u32_e32 v3, -1, v3
	s_delay_alu instid0(VALU_DEP_2) | instskip(NEXT) | instid1(VALU_DEP_2)
	v_cndmask_b32_e64 v5, v5, v10, s1
	v_min_u32_e32 v3, v10, v3
	v_cndmask_b32_e64 v6, v10, v6, s1
	s_delay_alu instid0(VALU_DEP_3) | instskip(NEXT) | instid1(VALU_DEP_3)
	v_cmp_gt_u32_e64 s2, s17, v5
	v_lshlrev_b32_e32 v3, 2, v3
	s_delay_alu instid0(VALU_DEP_3) | instskip(SKIP_4) | instid1(VALU_DEP_2)
	v_cmp_le_u32_e64 s4, s5, v6
	ds_load_b32 v3, v3
	s_waitcnt lgkmcnt(0)
	v_cndmask_b32_e64 v15, v3, v11, s1
	v_cndmask_b32_e64 v16, v7, v3, s1
	v_and_b32_e32 v3, s19, v15
	s_delay_alu instid0(VALU_DEP_2) | instskip(NEXT) | instid1(VALU_DEP_1)
	v_and_b32_e32 v17, s19, v16
	v_cmp_le_i32_e64 s3, v3, v17
	v_cndmask_b32_e64 v3, v11, v7, s1
	s_delay_alu instid0(VALU_DEP_2) | instskip(NEXT) | instid1(SALU_CYCLE_1)
	s_and_b32 s0, s2, s3
	s_or_b32 vcc_lo, s4, s0
	v_dual_cndmask_b32 v4, v15, v16 :: v_dual_cndmask_b32 v11, v6, v5
.LBB8_21:
	s_or_b32 exec_lo, exec_lo, s13
	s_add_u32 s3, s8, s14
	v_cmp_gt_u32_e64 s1, s17, v0
	v_cmp_le_u32_e64 s0, s17, v0
	v_or_b32_e32 v10, 0x100, v0
	v_or_b32_e32 v8, 0x200, v0
	v_or_b32_e32 v7, 0x300, v0
	s_addc_u32 s4, s9, 0
	s_add_u32 s13, s8, s20
	s_mov_b32 s2, 0
	s_addc_u32 s19, s9, 0
	s_and_not1_b32 vcc_lo, exec_lo, s18
	s_barrier
	buffer_gl0_inv
	s_cbranch_vccnz .LBB8_23
; %bb.22:
	v_subrev_nc_u32_e32 v5, s17, v0
	v_or_b32_e32 v15, 0x100, v0
	v_or_b32_e32 v21, 0x200, v0
	s_delay_alu instid0(VALU_DEP_3) | instskip(NEXT) | instid1(VALU_DEP_1)
	v_add_co_u32 v5, s2, s13, v5
	v_add_co_ci_u32_e64 v6, null, s19, 0, s2
	v_add_co_u32 v19, s2, s3, v0
	s_delay_alu instid0(VALU_DEP_1) | instskip(SKIP_1) | instid1(VALU_DEP_3)
	v_add_co_ci_u32_e64 v20, null, s4, 0, s2
	v_subrev_nc_u32_e32 v16, s17, v15
	v_add_co_u32 v17, vcc_lo, 0x100, v19
	s_delay_alu instid0(VALU_DEP_3) | instskip(NEXT) | instid1(VALU_DEP_3)
	v_add_co_ci_u32_e32 v18, vcc_lo, 0, v20, vcc_lo
	v_add_co_u32 v22, s2, s13, v16
	v_cmp_gt_u32_e32 vcc_lo, s17, v15
	v_subrev_nc_u32_e32 v15, s17, v21
	v_add_co_ci_u32_e64 v16, null, s19, 0, s2
	v_add_co_u32 v23, s2, 0x200, v19
	s_delay_alu instid0(VALU_DEP_1) | instskip(NEXT) | instid1(VALU_DEP_4)
	v_add_co_ci_u32_e64 v24, s2, 0, v20, s2
	v_add_co_u32 v25, s2, s13, v15
	s_delay_alu instid0(VALU_DEP_1) | instskip(SKIP_4) | instid1(VALU_DEP_4)
	v_add_co_ci_u32_e64 v26, null, s19, 0, s2
	v_cmp_gt_u32_e64 s2, s17, v21
	v_cndmask_b32_e64 v6, v6, v20, s1
	v_cndmask_b32_e64 v5, v5, v19, s1
	v_dual_cndmask_b32 v16, v16, v18 :: v_dual_cndmask_b32 v15, v22, v17
	v_cndmask_b32_e64 v18, v26, v24, s2
	v_cndmask_b32_e64 v17, v25, v23, s2
	global_load_u8 v21, v[5:6], off
	global_load_u8 v16, v[15:16], off
	global_load_u8 v17, v[17:18], off
	v_or_b32_e32 v15, 0x300, v0
	v_add_co_u32 v18, vcc_lo, 0x300, v19
	v_add_co_ci_u32_e32 v6, vcc_lo, 0, v20, vcc_lo
	s_delay_alu instid0(VALU_DEP_3)
	v_subrev_nc_u32_e32 v5, s17, v15
	v_cmp_gt_u32_e32 vcc_lo, s17, v15
	s_mov_b32 s2, -1
	s_waitcnt vmcnt(2)
	ds_store_b8 v0, v21
	s_waitcnt vmcnt(1)
	ds_store_b8 v0, v16 offset:256
	s_waitcnt vmcnt(0)
	ds_store_b8 v0, v17 offset:512
	v_add_co_u32 v5, s1, s13, v5
	s_delay_alu instid0(VALU_DEP_1) | instskip(NEXT) | instid1(VALU_DEP_2)
	v_add_co_ci_u32_e64 v19, null, s19, 0, s1
	v_cndmask_b32_e32 v5, v5, v18, vcc_lo
	s_delay_alu instid0(VALU_DEP_2)
	v_cndmask_b32_e32 v6, v19, v6, vcc_lo
	s_cbranch_execz .LBB8_24
	s_branch .LBB8_43
.LBB8_23:
                                        ; implicit-def: $vgpr15
                                        ; implicit-def: $vgpr5_vgpr6
.LBB8_24:
	s_mov_b32 s1, 0
                                        ; implicit-def: $vgpr5_vgpr6
	s_and_saveexec_b32 s22, s0
	s_delay_alu instid0(SALU_CYCLE_1)
	s_xor_b32 s0, exec_lo, s22
	s_cbranch_execnz .LBB8_72
; %bb.25:
	s_and_not1_saveexec_b32 s0, s0
	s_cbranch_execnz .LBB8_75
.LBB8_26:
	s_or_b32 exec_lo, exec_lo, s0
	s_and_saveexec_b32 s0, s1
	s_cbranch_execz .LBB8_28
.LBB8_27:
	global_load_u8 v5, v[5:6], off
	s_waitcnt vmcnt(0)
	ds_store_b8 v0, v5
.LBB8_28:
	s_or_b32 exec_lo, exec_lo, s0
	v_dual_mov_b32 v5, s14 :: v_dual_mov_b32 v6, s15
	v_mov_b32_e32 v15, v10
	s_mov_b32 s0, -1
	s_mov_b32 s1, exec_lo
	v_cmpx_le_u32_e64 s17, v10
; %bb.29:
	v_subrev_nc_u32_e32 v15, s17, v10
	v_dual_mov_b32 v5, s20 :: v_dual_mov_b32 v6, s21
	s_delay_alu instid0(VALU_DEP_2)
	v_cmp_gt_u32_e32 vcc_lo, s25, v15
	s_or_not1_b32 s0, vcc_lo, exec_lo
; %bb.30:
	s_or_b32 exec_lo, exec_lo, s1
	s_and_saveexec_b32 s1, s0
	s_cbranch_execz .LBB8_32
; %bb.31:
	v_add_co_u32 v5, vcc_lo, s8, v5
	v_add_co_ci_u32_e32 v6, vcc_lo, s9, v6, vcc_lo
	s_delay_alu instid0(VALU_DEP_2) | instskip(NEXT) | instid1(VALU_DEP_2)
	v_add_co_u32 v5, vcc_lo, v5, v15
	v_add_co_ci_u32_e32 v6, vcc_lo, 0, v6, vcc_lo
	global_load_u8 v5, v[5:6], off
	s_waitcnt vmcnt(0)
	ds_store_b8 v0, v5 offset:256
.LBB8_32:
	s_or_b32 exec_lo, exec_lo, s1
	v_dual_mov_b32 v5, s14 :: v_dual_mov_b32 v6, s15
	v_mov_b32_e32 v15, v8
	s_mov_b32 s0, -1
	s_mov_b32 s1, exec_lo
	v_cmpx_le_u32_e64 s17, v8
; %bb.33:
	v_subrev_nc_u32_e32 v15, s17, v8
	v_dual_mov_b32 v5, s20 :: v_dual_mov_b32 v6, s21
	s_delay_alu instid0(VALU_DEP_2)
	v_cmp_gt_u32_e32 vcc_lo, s25, v15
	s_or_not1_b32 s0, vcc_lo, exec_lo
; %bb.34:
	s_or_b32 exec_lo, exec_lo, s1
	s_and_saveexec_b32 s1, s0
	s_cbranch_execz .LBB8_36
; %bb.35:
	v_add_co_u32 v5, vcc_lo, s8, v5
	v_add_co_ci_u32_e32 v6, vcc_lo, s9, v6, vcc_lo
	s_delay_alu instid0(VALU_DEP_2) | instskip(NEXT) | instid1(VALU_DEP_2)
	v_add_co_u32 v5, vcc_lo, v5, v15
	v_add_co_ci_u32_e32 v6, vcc_lo, 0, v6, vcc_lo
	global_load_u8 v5, v[5:6], off
	s_waitcnt vmcnt(0)
	ds_store_b8 v0, v5 offset:512
.LBB8_36:
	s_or_b32 exec_lo, exec_lo, s1
	s_delay_alu instid0(SALU_CYCLE_1)
	s_mov_b32 s0, exec_lo
                                        ; implicit-def: $vgpr15
                                        ; implicit-def: $vgpr5_vgpr6
	v_cmpx_le_u32_e64 s17, v7
	s_xor_b32 s0, exec_lo, s0
	s_cbranch_execz .LBB8_40
; %bb.37:
	v_subrev_nc_u32_e32 v16, s17, v7
	s_mov_b32 s1, s2
	s_mov_b32 s8, exec_lo
                                        ; implicit-def: $vgpr15
                                        ; implicit-def: $vgpr5_vgpr6
	s_delay_alu instid0(VALU_DEP_1)
	v_cmpx_gt_u32_e64 s25, v16
; %bb.38:
	v_add_co_u32 v5, s1, s13, v16
	v_or_b32_e32 v15, 0x300, v0
	v_add_co_ci_u32_e64 v6, null, s19, 0, s1
	s_or_b32 s1, s2, exec_lo
; %bb.39:
	s_or_b32 exec_lo, exec_lo, s8
	s_delay_alu instid0(SALU_CYCLE_1) | instskip(SKIP_1) | instid1(SALU_CYCLE_1)
	s_and_not1_b32 s2, s2, exec_lo
	s_and_b32 s1, s1, exec_lo
	s_or_b32 s2, s2, s1
.LBB8_40:
	s_and_not1_saveexec_b32 s0, s0
; %bb.41:
	v_add_co_u32 v5, s1, s3, v0
	s_delay_alu instid0(VALU_DEP_1) | instskip(SKIP_1) | instid1(VALU_DEP_3)
	v_add_co_ci_u32_e64 v6, null, s4, 0, s1
	v_mov_b32_e32 v15, v7
	v_add_co_u32 v5, vcc_lo, 0x300, v5
	s_delay_alu instid0(VALU_DEP_3)
	v_add_co_ci_u32_e32 v6, vcc_lo, 0, v6, vcc_lo
	s_or_b32 s2, s2, exec_lo
; %bb.42:
	s_or_b32 exec_lo, exec_lo, s0
.LBB8_43:
	s_and_saveexec_b32 s0, s2
	s_cbranch_execz .LBB8_45
; %bb.44:
	global_load_u8 v5, v[5:6], off
	s_waitcnt vmcnt(0)
	ds_store_b8 v15, v5
.LBB8_45:
	s_or_b32 exec_lo, exec_lo, s0
	v_add_nc_u32_e32 v15, s12, v9
	s_and_not1_b32 vcc_lo, exec_lo, s18
	s_waitcnt lgkmcnt(0)
	s_barrier
	buffer_gl0_inv
	s_cbranch_vccnz .LBB8_47
; %bb.46:
	ds_load_u8 v5, v13
	ds_load_u8 v6, v12
	;; [unrolled: 1-line block ×3, first 2 shown]
	s_mov_b32 s0, -1
	s_waitcnt lgkmcnt(2)
	v_lshlrev_b16 v5, 8, v5
	s_waitcnt lgkmcnt(1)
	s_delay_alu instid0(VALU_DEP_1)
	v_or_b32_e32 v5, v6, v5
	v_mov_b32_e32 v6, 0
	s_waitcnt lgkmcnt(0)
	s_clause 0x1
	global_store_b8 v15, v16, s[10:11] offset:2
	global_store_b16 v15, v5, s[10:11]
	s_cbranch_execz .LBB8_48
	s_branch .LBB8_57
.LBB8_47:
	s_mov_b32 s0, 0
                                        ; implicit-def: $vgpr5_vgpr6
.LBB8_48:
	s_mov_b32 s1, exec_lo
	v_cmpx_gt_u32_e64 s5, v9
	s_cbranch_execz .LBB8_50
; %bb.49:
	ds_load_u8 v5, v12
	s_waitcnt lgkmcnt(0)
	global_store_b8 v15, v5, s[10:11]
.LBB8_50:
	s_or_b32 exec_lo, exec_lo, s1
	v_or_b32_e32 v5, 1, v9
	s_mov_b32 s1, exec_lo
	s_delay_alu instid0(VALU_DEP_1)
	v_cmpx_gt_u32_e64 s5, v5
	s_cbranch_execz .LBB8_52
; %bb.51:
	ds_load_u8 v5, v13
	s_waitcnt lgkmcnt(0)
	global_store_b8 v15, v5, s[10:11] offset:1
.LBB8_52:
	s_or_b32 exec_lo, exec_lo, s1
	v_or_b32_e32 v5, 2, v9
	s_mov_b32 s1, exec_lo
	s_delay_alu instid0(VALU_DEP_1)
	v_cmpx_gt_u32_e64 s5, v5
	s_cbranch_execz .LBB8_54
; %bb.53:
	ds_load_u8 v5, v14
	s_waitcnt lgkmcnt(0)
	global_store_b8 v15, v5, s[10:11] offset:2
.LBB8_54:
	s_or_b32 exec_lo, exec_lo, s1
	v_or_b32_e32 v5, 3, v9
	s_mov_b32 s1, exec_lo
	s_delay_alu instid0(VALU_DEP_1)
	v_cmpx_gt_u32_e64 s5, v5
                                        ; implicit-def: $vgpr5_vgpr6
; %bb.55:
	v_mov_b32_e32 v6, 0
	s_or_b32 s0, s0, exec_lo
; %bb.56:
	s_or_b32 exec_lo, exec_lo, s1
.LBB8_57:
	s_and_saveexec_b32 s1, s0
	s_cbranch_execz .LBB8_59
; %bb.58:
	ds_load_u8 v11, v11
	v_add_co_u32 v5, vcc_lo, s10, v15
	v_add_co_ci_u32_e32 v6, vcc_lo, s11, v6, vcc_lo
	s_waitcnt lgkmcnt(0)
	global_store_b8 v[5:6], v11, off offset:3
.LBB8_59:
	s_or_b32 exec_lo, exec_lo, s1
	v_lshrrev_b32_e32 v5, 3, v0
	v_lshlrev_b32_e32 v6, 2, v9
	v_lshrrev_b32_e32 v11, 3, v10
	v_lshrrev_b32_e32 v12, 3, v8
	;; [unrolled: 1-line block ×3, first 2 shown]
	s_mov_b32 s13, 0
	v_lshl_add_u32 v6, v5, 2, v6
	s_lshl_b64 s[0:1], s[12:13], 2
	v_and_b32_e32 v5, 28, v5
	v_and_b32_e32 v11, 60, v11
	;; [unrolled: 1-line block ×4, first 2 shown]
	s_add_u32 s0, s6, s0
	s_waitcnt_vscnt null, 0x0
	s_barrier
	buffer_gl0_inv
	s_barrier
	buffer_gl0_inv
	s_addc_u32 s1, s7, s1
	ds_store_2addr_b32 v6, v1, v2 offset1:1
	ds_store_2addr_b32 v6, v3, v4 offset0:2 offset1:3
	v_add_co_u32 v1, s0, s0, v9
	v_add_nc_u32_e32 v4, v9, v5
	v_add_nc_u32_e32 v5, v9, v11
	;; [unrolled: 1-line block ×4, first 2 shown]
	v_add_co_ci_u32_e64 v2, null, s1, 0, s0
	s_and_b32 vcc_lo, exec_lo, s18
	s_waitcnt lgkmcnt(0)
	s_cbranch_vccz .LBB8_61
; %bb.60:
	s_barrier
	buffer_gl0_inv
	ds_load_b32 v9, v4
	ds_load_b32 v12, v5 offset:1024
	ds_load_b32 v13, v6 offset:2048
	;; [unrolled: 1-line block ×3, first 2 shown]
	s_mov_b32 s13, -1
	s_waitcnt lgkmcnt(3)
	global_store_b32 v[1:2], v9, off
	s_waitcnt lgkmcnt(2)
	global_store_b32 v[1:2], v12, off offset:1024
	s_waitcnt lgkmcnt(1)
	global_store_b32 v[1:2], v13, off offset:2048
	s_cbranch_execz .LBB8_62
	s_branch .LBB8_67
.LBB8_61:
                                        ; implicit-def: $vgpr3
.LBB8_62:
	s_waitcnt lgkmcnt(0)
	s_waitcnt_vscnt null, 0x0
	s_barrier
	buffer_gl0_inv
	ds_load_b32 v9, v5 offset:1024
	ds_load_b32 v5, v6 offset:2048
	;; [unrolled: 1-line block ×3, first 2 shown]
	s_sub_i32 s0, s16, s12
	s_mov_b32 s1, exec_lo
	v_cmpx_gt_u32_e64 s0, v0
	s_cbranch_execnz .LBB8_76
; %bb.63:
	s_or_b32 exec_lo, exec_lo, s1
	s_delay_alu instid0(SALU_CYCLE_1)
	s_mov_b32 s1, exec_lo
	v_cmpx_gt_u32_e64 s0, v10
	s_cbranch_execnz .LBB8_77
.LBB8_64:
	s_or_b32 exec_lo, exec_lo, s1
	s_delay_alu instid0(SALU_CYCLE_1)
	s_mov_b32 s1, exec_lo
	v_cmpx_gt_u32_e64 s0, v8
	s_cbranch_execz .LBB8_66
.LBB8_65:
	s_waitcnt lgkmcnt(1)
	global_store_b32 v[1:2], v5, off offset:2048
.LBB8_66:
	s_or_b32 exec_lo, exec_lo, s1
	v_cmp_gt_u32_e64 s13, s0, v7
.LBB8_67:
	s_delay_alu instid0(VALU_DEP_1)
	s_and_saveexec_b32 s0, s13
	s_cbranch_execz .LBB8_69
; %bb.68:
	s_waitcnt lgkmcnt(0)
	global_store_b32 v[1:2], v3, off offset:3072
.LBB8_69:
	s_nop 0
	s_sendmsg sendmsg(MSG_DEALLOC_VGPRS)
	s_endpgm
.LBB8_70:
	s_waitcnt vmcnt(3)
	v_subrev_nc_u32_e32 v1, s17, v0
	s_waitcnt vmcnt(1)
	v_add_co_u32 v3, s1, s26, v9
	v_mov_b32_e32 v2, 0
	s_waitcnt vmcnt(0)
	v_add_co_ci_u32_e64 v4, null, s27, 0, s1
	s_delay_alu instid0(VALU_DEP_2) | instskip(NEXT) | instid1(VALU_DEP_1)
	v_lshlrev_b64 v[1:2], 2, v[1:2]
	v_add_co_u32 v1, vcc_lo, s3, v1
	s_delay_alu instid0(VALU_DEP_2) | instskip(SKIP_1) | instid1(VALU_DEP_2)
	v_add_co_ci_u32_e32 v2, vcc_lo, s4, v2, vcc_lo
	v_cmp_gt_u32_e32 vcc_lo, s17, v0
	v_dual_cndmask_b32 v1, v1, v3 :: v_dual_cndmask_b32 v2, v2, v4
	global_load_b32 v1, v[1:2], off
	s_or_b32 exec_lo, exec_lo, s0
	s_delay_alu instid0(SALU_CYCLE_1)
	s_mov_b32 s1, exec_lo
	v_cmpx_gt_u32_e64 s5, v7
	s_cbranch_execz .LBB8_6
.LBB8_71:
	v_mov_b32_e32 v8, 0
	s_delay_alu instid0(VALU_DEP_1) | instskip(SKIP_1) | instid1(VALU_DEP_1)
	v_lshlrev_b64 v[11:12], 2, v[7:8]
	s_waitcnt vmcnt(2)
	v_add_co_u32 v2, vcc_lo, s26, v11
	s_delay_alu instid0(VALU_DEP_2) | instskip(SKIP_2) | instid1(VALU_DEP_1)
	v_add_co_ci_u32_e32 v11, vcc_lo, s27, v12, vcc_lo
	v_cmp_gt_u32_e32 vcc_lo, s17, v7
	v_subrev_nc_u32_e32 v7, s17, v7
	v_lshlrev_b64 v[6:7], 2, v[7:8]
	s_delay_alu instid0(VALU_DEP_1) | instskip(NEXT) | instid1(VALU_DEP_1)
	v_add_co_u32 v6, s0, s3, v6
	v_add_co_ci_u32_e64 v7, s0, s4, v7, s0
	s_delay_alu instid0(VALU_DEP_1) | instskip(SKIP_2) | instid1(SALU_CYCLE_1)
	v_dual_cndmask_b32 v6, v6, v2 :: v_dual_cndmask_b32 v7, v7, v11
	global_load_b32 v2, v[6:7], off
	s_or_b32 exec_lo, exec_lo, s1
	s_mov_b32 s0, exec_lo
	v_cmpx_gt_u32_e64 s5, v5
	s_cbranch_execnz .LBB8_7
	s_branch .LBB8_8
.LBB8_72:
	v_subrev_nc_u32_e32 v15, s17, v0
	s_mov_b32 s22, exec_lo
                                        ; implicit-def: $vgpr5_vgpr6
	s_delay_alu instid0(VALU_DEP_1)
	v_cmpx_gt_u32_e64 s25, v15
	s_xor_b32 s22, exec_lo, s22
; %bb.73:
	v_add_co_u32 v5, s23, s13, v15
	s_mov_b32 s1, exec_lo
	v_add_co_ci_u32_e64 v6, null, s19, 0, s23
; %bb.74:
	s_or_b32 exec_lo, exec_lo, s22
	s_delay_alu instid0(SALU_CYCLE_1)
	s_and_b32 s1, s1, exec_lo
	s_and_not1_saveexec_b32 s0, s0
	s_cbranch_execz .LBB8_26
.LBB8_75:
	v_add_co_u32 v5, s22, s3, v0
	s_delay_alu instid0(VALU_DEP_1)
	v_add_co_ci_u32_e64 v6, null, s4, 0, s22
	s_or_b32 s1, s1, exec_lo
	s_or_b32 exec_lo, exec_lo, s0
	s_and_saveexec_b32 s0, s1
	s_cbranch_execnz .LBB8_27
	s_branch .LBB8_28
.LBB8_76:
	ds_load_b32 v0, v4
	s_waitcnt lgkmcnt(0)
	global_store_b32 v[1:2], v0, off
	s_or_b32 exec_lo, exec_lo, s1
	s_delay_alu instid0(SALU_CYCLE_1)
	s_mov_b32 s1, exec_lo
	v_cmpx_gt_u32_e64 s0, v10
	s_cbranch_execz .LBB8_64
.LBB8_77:
	s_waitcnt lgkmcnt(2)
	global_store_b32 v[1:2], v9, off offset:1024
	s_or_b32 exec_lo, exec_lo, s1
	s_delay_alu instid0(SALU_CYCLE_1)
	s_mov_b32 s1, exec_lo
	v_cmpx_gt_u32_e64 s0, v8
	s_cbranch_execnz .LBB8_65
	s_branch .LBB8_66
	.section	.rodata,"a",@progbits
	.p2align	6, 0x0
	.amdhsa_kernel _ZN7rocprim17ROCPRIM_304000_NS6detail35device_block_merge_mergepath_kernelINS1_37wrapped_merge_sort_block_merge_configINS0_14default_configEiN2at4cuda3cub6detail10OpaqueTypeILi1EEEEEPiSC_PSA_SD_jNS1_19radix_merge_compareILb1ELb1EiNS0_19identity_decomposerEEEEEvT0_T1_T2_T3_T4_SL_jT5_PKSL_NS1_7vsmem_tE
		.amdhsa_group_segment_fixed_size 4224
		.amdhsa_private_segment_fixed_size 0
		.amdhsa_kernarg_size 320
		.amdhsa_user_sgpr_count 13
		.amdhsa_user_sgpr_dispatch_ptr 0
		.amdhsa_user_sgpr_queue_ptr 0
		.amdhsa_user_sgpr_kernarg_segment_ptr 1
		.amdhsa_user_sgpr_dispatch_id 0
		.amdhsa_user_sgpr_private_segment_size 0
		.amdhsa_wavefront_size32 1
		.amdhsa_uses_dynamic_stack 0
		.amdhsa_enable_private_segment 0
		.amdhsa_system_sgpr_workgroup_id_x 1
		.amdhsa_system_sgpr_workgroup_id_y 1
		.amdhsa_system_sgpr_workgroup_id_z 1
		.amdhsa_system_sgpr_workgroup_info 0
		.amdhsa_system_vgpr_workitem_id 0
		.amdhsa_next_free_vgpr 27
		.amdhsa_next_free_sgpr 29
		.amdhsa_reserve_vcc 1
		.amdhsa_float_round_mode_32 0
		.amdhsa_float_round_mode_16_64 0
		.amdhsa_float_denorm_mode_32 3
		.amdhsa_float_denorm_mode_16_64 3
		.amdhsa_dx10_clamp 1
		.amdhsa_ieee_mode 1
		.amdhsa_fp16_overflow 0
		.amdhsa_workgroup_processor_mode 1
		.amdhsa_memory_ordered 1
		.amdhsa_forward_progress 0
		.amdhsa_shared_vgpr_count 0
		.amdhsa_exception_fp_ieee_invalid_op 0
		.amdhsa_exception_fp_denorm_src 0
		.amdhsa_exception_fp_ieee_div_zero 0
		.amdhsa_exception_fp_ieee_overflow 0
		.amdhsa_exception_fp_ieee_underflow 0
		.amdhsa_exception_fp_ieee_inexact 0
		.amdhsa_exception_int_div_zero 0
	.end_amdhsa_kernel
	.section	.text._ZN7rocprim17ROCPRIM_304000_NS6detail35device_block_merge_mergepath_kernelINS1_37wrapped_merge_sort_block_merge_configINS0_14default_configEiN2at4cuda3cub6detail10OpaqueTypeILi1EEEEEPiSC_PSA_SD_jNS1_19radix_merge_compareILb1ELb1EiNS0_19identity_decomposerEEEEEvT0_T1_T2_T3_T4_SL_jT5_PKSL_NS1_7vsmem_tE,"axG",@progbits,_ZN7rocprim17ROCPRIM_304000_NS6detail35device_block_merge_mergepath_kernelINS1_37wrapped_merge_sort_block_merge_configINS0_14default_configEiN2at4cuda3cub6detail10OpaqueTypeILi1EEEEEPiSC_PSA_SD_jNS1_19radix_merge_compareILb1ELb1EiNS0_19identity_decomposerEEEEEvT0_T1_T2_T3_T4_SL_jT5_PKSL_NS1_7vsmem_tE,comdat
.Lfunc_end8:
	.size	_ZN7rocprim17ROCPRIM_304000_NS6detail35device_block_merge_mergepath_kernelINS1_37wrapped_merge_sort_block_merge_configINS0_14default_configEiN2at4cuda3cub6detail10OpaqueTypeILi1EEEEEPiSC_PSA_SD_jNS1_19radix_merge_compareILb1ELb1EiNS0_19identity_decomposerEEEEEvT0_T1_T2_T3_T4_SL_jT5_PKSL_NS1_7vsmem_tE, .Lfunc_end8-_ZN7rocprim17ROCPRIM_304000_NS6detail35device_block_merge_mergepath_kernelINS1_37wrapped_merge_sort_block_merge_configINS0_14default_configEiN2at4cuda3cub6detail10OpaqueTypeILi1EEEEEPiSC_PSA_SD_jNS1_19radix_merge_compareILb1ELb1EiNS0_19identity_decomposerEEEEEvT0_T1_T2_T3_T4_SL_jT5_PKSL_NS1_7vsmem_tE
                                        ; -- End function
	.section	.AMDGPU.csdata,"",@progbits
; Kernel info:
; codeLenInByte = 3876
; NumSgprs: 31
; NumVgprs: 27
; ScratchSize: 0
; MemoryBound: 0
; FloatMode: 240
; IeeeMode: 1
; LDSByteSize: 4224 bytes/workgroup (compile time only)
; SGPRBlocks: 3
; VGPRBlocks: 3
; NumSGPRsForWavesPerEU: 31
; NumVGPRsForWavesPerEU: 27
; Occupancy: 16
; WaveLimiterHint : 1
; COMPUTE_PGM_RSRC2:SCRATCH_EN: 0
; COMPUTE_PGM_RSRC2:USER_SGPR: 13
; COMPUTE_PGM_RSRC2:TRAP_HANDLER: 0
; COMPUTE_PGM_RSRC2:TGID_X_EN: 1
; COMPUTE_PGM_RSRC2:TGID_Y_EN: 1
; COMPUTE_PGM_RSRC2:TGID_Z_EN: 1
; COMPUTE_PGM_RSRC2:TIDIG_COMP_CNT: 0
	.section	.text._ZN7rocprim17ROCPRIM_304000_NS6detail33device_block_merge_oddeven_kernelINS1_37wrapped_merge_sort_block_merge_configINS0_14default_configEiN2at4cuda3cub6detail10OpaqueTypeILi1EEEEEPiSC_PSA_SD_jNS1_19radix_merge_compareILb1ELb1EiNS0_19identity_decomposerEEEEEvT0_T1_T2_T3_T4_SL_T5_,"axG",@progbits,_ZN7rocprim17ROCPRIM_304000_NS6detail33device_block_merge_oddeven_kernelINS1_37wrapped_merge_sort_block_merge_configINS0_14default_configEiN2at4cuda3cub6detail10OpaqueTypeILi1EEEEEPiSC_PSA_SD_jNS1_19radix_merge_compareILb1ELb1EiNS0_19identity_decomposerEEEEEvT0_T1_T2_T3_T4_SL_T5_,comdat
	.protected	_ZN7rocprim17ROCPRIM_304000_NS6detail33device_block_merge_oddeven_kernelINS1_37wrapped_merge_sort_block_merge_configINS0_14default_configEiN2at4cuda3cub6detail10OpaqueTypeILi1EEEEEPiSC_PSA_SD_jNS1_19radix_merge_compareILb1ELb1EiNS0_19identity_decomposerEEEEEvT0_T1_T2_T3_T4_SL_T5_ ; -- Begin function _ZN7rocprim17ROCPRIM_304000_NS6detail33device_block_merge_oddeven_kernelINS1_37wrapped_merge_sort_block_merge_configINS0_14default_configEiN2at4cuda3cub6detail10OpaqueTypeILi1EEEEEPiSC_PSA_SD_jNS1_19radix_merge_compareILb1ELb1EiNS0_19identity_decomposerEEEEEvT0_T1_T2_T3_T4_SL_T5_
	.globl	_ZN7rocprim17ROCPRIM_304000_NS6detail33device_block_merge_oddeven_kernelINS1_37wrapped_merge_sort_block_merge_configINS0_14default_configEiN2at4cuda3cub6detail10OpaqueTypeILi1EEEEEPiSC_PSA_SD_jNS1_19radix_merge_compareILb1ELb1EiNS0_19identity_decomposerEEEEEvT0_T1_T2_T3_T4_SL_T5_
	.p2align	8
	.type	_ZN7rocprim17ROCPRIM_304000_NS6detail33device_block_merge_oddeven_kernelINS1_37wrapped_merge_sort_block_merge_configINS0_14default_configEiN2at4cuda3cub6detail10OpaqueTypeILi1EEEEEPiSC_PSA_SD_jNS1_19radix_merge_compareILb1ELb1EiNS0_19identity_decomposerEEEEEvT0_T1_T2_T3_T4_SL_T5_,@function
_ZN7rocprim17ROCPRIM_304000_NS6detail33device_block_merge_oddeven_kernelINS1_37wrapped_merge_sort_block_merge_configINS0_14default_configEiN2at4cuda3cub6detail10OpaqueTypeILi1EEEEEPiSC_PSA_SD_jNS1_19radix_merge_compareILb1ELb1EiNS0_19identity_decomposerEEEEEvT0_T1_T2_T3_T4_SL_T5_: ; @_ZN7rocprim17ROCPRIM_304000_NS6detail33device_block_merge_oddeven_kernelINS1_37wrapped_merge_sort_block_merge_configINS0_14default_configEiN2at4cuda3cub6detail10OpaqueTypeILi1EEEEEPiSC_PSA_SD_jNS1_19radix_merge_compareILb1ELb1EiNS0_19identity_decomposerEEEEEvT0_T1_T2_T3_T4_SL_T5_
; %bb.0:
	s_load_b128 s[16:19], s[0:1], 0x20
	s_waitcnt lgkmcnt(0)
	s_lshr_b32 s2, s16, 8
	s_delay_alu instid0(SALU_CYCLE_1) | instskip(SKIP_4) | instid1(SALU_CYCLE_1)
	s_cmp_lg_u32 s15, s2
	s_cselect_b32 s4, -1, 0
	s_cmp_eq_u32 s15, s2
	s_cselect_b32 s3, -1, 0
	s_lshl_b32 s12, s15, 8
	s_sub_i32 s2, s16, s12
	s_delay_alu instid0(SALU_CYCLE_1) | instskip(NEXT) | instid1(VALU_DEP_1)
	v_cmp_gt_u32_e64 s2, s2, v0
	s_or_b32 s4, s4, s2
	s_delay_alu instid0(SALU_CYCLE_1)
	s_and_saveexec_b32 s5, s4
	s_cbranch_execz .LBB9_26
; %bb.1:
	s_load_b256 s[4:11], s[0:1], 0x0
	s_mov_b32 s13, 0
	v_lshlrev_b32_e32 v1, 2, v0
	s_lshl_b64 s[0:1], s[12:13], 2
	v_add_nc_u32_e32 v2, s12, v0
	s_waitcnt lgkmcnt(0)
	s_add_u32 s0, s4, s0
	s_addc_u32 s1, s5, s1
	s_add_u32 s8, s8, s12
	s_addc_u32 s9, s9, 0
	global_load_u8 v4, v0, s[8:9]
	global_load_b32 v5, v1, s[0:1]
	s_lshr_b32 s0, s17, 8
	s_delay_alu instid0(SALU_CYCLE_1) | instskip(NEXT) | instid1(SALU_CYCLE_1)
	s_sub_i32 s1, 0, s0
	s_and_b32 s1, s15, s1
	s_delay_alu instid0(SALU_CYCLE_1) | instskip(SKIP_4) | instid1(SALU_CYCLE_1)
	s_and_b32 s0, s1, s0
	s_lshl_b32 s9, s1, 8
	s_sub_i32 s1, 0, s17
	s_cmp_eq_u32 s0, 0
	s_cselect_b32 s0, -1, 0
	s_and_b32 s8, s0, exec_lo
	s_cselect_b32 s1, s17, s1
	s_delay_alu instid0(SALU_CYCLE_1) | instskip(NEXT) | instid1(SALU_CYCLE_1)
	s_add_i32 s1, s1, s9
	s_cmp_lt_u32 s1, s16
	s_cbranch_scc1 .LBB9_6
; %bb.2:
	s_and_b32 vcc_lo, exec_lo, s3
	s_cbranch_vccz .LBB9_7
; %bb.3:
	s_mov_b32 s8, 0
	s_mov_b32 s12, exec_lo
                                        ; implicit-def: $vgpr0_vgpr1
	v_cmpx_gt_u32_e64 s16, v2
	s_cbranch_execz .LBB9_5
; %bb.4:
	v_mov_b32_e32 v3, 0
	s_mov_b32 s13, exec_lo
	s_delay_alu instid0(VALU_DEP_1) | instskip(NEXT) | instid1(VALU_DEP_1)
	v_lshlrev_b64 v[0:1], 2, v[2:3]
	v_add_co_u32 v6, vcc_lo, s6, v0
	v_add_co_u32 v0, s14, s10, v2
	s_delay_alu instid0(VALU_DEP_3)
	v_add_co_ci_u32_e32 v7, vcc_lo, s7, v1, vcc_lo
	v_add_co_ci_u32_e64 v1, null, s11, 0, s14
	s_waitcnt vmcnt(0)
	global_store_b32 v[6:7], v5, off
.LBB9_5:
	s_or_b32 exec_lo, exec_lo, s12
	s_delay_alu instid0(SALU_CYCLE_1)
	s_and_b32 vcc_lo, exec_lo, s8
	s_cbranch_vccnz .LBB9_8
	s_branch .LBB9_9
.LBB9_6:
                                        ; implicit-def: $vgpr0_vgpr1
	s_cbranch_execnz .LBB9_10
	s_branch .LBB9_24
.LBB9_7:
                                        ; implicit-def: $vgpr0_vgpr1
	s_cbranch_execz .LBB9_9
.LBB9_8:
	v_mov_b32_e32 v3, 0
	s_or_b32 s13, s13, exec_lo
	s_delay_alu instid0(VALU_DEP_1) | instskip(NEXT) | instid1(VALU_DEP_1)
	v_lshlrev_b64 v[0:1], 2, v[2:3]
	v_add_co_u32 v6, vcc_lo, s6, v0
	v_add_co_u32 v0, s8, s10, v2
	s_delay_alu instid0(VALU_DEP_3)
	v_add_co_ci_u32_e32 v7, vcc_lo, s7, v1, vcc_lo
	v_add_co_ci_u32_e64 v1, null, s11, 0, s8
	s_waitcnt vmcnt(0)
	global_store_b32 v[6:7], v5, off
.LBB9_9:
	s_branch .LBB9_24
.LBB9_10:
	s_min_u32 s8, s1, s16
	s_and_b32 vcc_lo, exec_lo, s3
	s_add_i32 s12, s9, s8
	s_min_u32 s9, s9, s8
	v_subrev_nc_u32_e32 v0, s12, v2
	s_add_i32 s12, s8, s17
	s_delay_alu instid0(SALU_CYCLE_1) | instskip(NEXT) | instid1(VALU_DEP_1)
	s_min_u32 s3, s12, s16
	v_add_nc_u32_e32 v2, s9, v0
	s_cbranch_vccz .LBB9_18
; %bb.11:
                                        ; implicit-def: $vgpr0_vgpr1
	s_and_saveexec_b32 s9, s2
	s_cbranch_execz .LBB9_17
; %bb.12:
	v_mov_b32_e32 v3, s8
	s_cmp_ge_u32 s1, s3
	s_cbranch_scc1 .LBB9_16
; %bb.13:
	s_waitcnt vmcnt(0)
	v_dual_mov_b32 v7, s3 :: v_dual_and_b32 v6, s18, v5
	v_mov_b32_e32 v3, s8
	v_mov_b32_e32 v1, 0
	s_mov_b32 s2, 0
	.p2align	6
.LBB9_14:                               ; =>This Inner Loop Header: Depth=1
	s_delay_alu instid0(VALU_DEP_2) | instskip(NEXT) | instid1(VALU_DEP_1)
	v_add_nc_u32_e32 v0, v3, v7
	v_lshrrev_b32_e32 v0, 1, v0
	s_delay_alu instid0(VALU_DEP_1) | instskip(NEXT) | instid1(VALU_DEP_1)
	v_lshlrev_b64 v[8:9], 2, v[0:1]
	v_add_co_u32 v8, vcc_lo, s4, v8
	s_delay_alu instid0(VALU_DEP_2) | instskip(SKIP_3) | instid1(VALU_DEP_1)
	v_add_co_ci_u32_e32 v9, vcc_lo, s5, v9, vcc_lo
	global_load_b32 v8, v[8:9], off
	s_waitcnt vmcnt(0)
	v_and_b32_e32 v8, s18, v8
	v_cmp_gt_i32_e32 vcc_lo, v8, v6
	v_cndmask_b32_e64 v9, 0, 1, vcc_lo
	v_cmp_le_i32_e32 vcc_lo, v6, v8
	v_cndmask_b32_e64 v8, 0, 1, vcc_lo
	s_delay_alu instid0(VALU_DEP_1) | instskip(SKIP_1) | instid1(VALU_DEP_2)
	v_cndmask_b32_e64 v8, v8, v9, s0
	v_add_nc_u32_e32 v9, 1, v0
	v_and_b32_e32 v8, 1, v8
	s_delay_alu instid0(VALU_DEP_1) | instskip(NEXT) | instid1(VALU_DEP_3)
	v_cmp_eq_u32_e32 vcc_lo, 1, v8
	v_cndmask_b32_e32 v3, v3, v9, vcc_lo
	v_cndmask_b32_e32 v7, v0, v7, vcc_lo
	s_delay_alu instid0(VALU_DEP_1) | instskip(SKIP_1) | instid1(SALU_CYCLE_1)
	v_cmp_ge_u32_e32 vcc_lo, v3, v7
	s_or_b32 s2, vcc_lo, s2
	s_and_not1_b32 exec_lo, exec_lo, s2
	s_cbranch_execnz .LBB9_14
; %bb.15:
	s_or_b32 exec_lo, exec_lo, s2
.LBB9_16:
	s_delay_alu instid0(VALU_DEP_1) | instskip(SKIP_1) | instid1(VALU_DEP_1)
	v_dual_mov_b32 v1, 0 :: v_dual_add_nc_u32 v0, v3, v2
	s_or_b32 s13, s13, exec_lo
	v_lshlrev_b64 v[6:7], 2, v[0:1]
	v_add_co_u32 v0, s2, s10, v0
	s_delay_alu instid0(VALU_DEP_1) | instskip(NEXT) | instid1(VALU_DEP_3)
	v_add_co_ci_u32_e64 v1, null, s11, 0, s2
	v_add_co_u32 v6, vcc_lo, s6, v6
	s_delay_alu instid0(VALU_DEP_4)
	v_add_co_ci_u32_e32 v7, vcc_lo, s7, v7, vcc_lo
	s_waitcnt vmcnt(0)
	global_store_b32 v[6:7], v5, off
.LBB9_17:
	s_or_b32 exec_lo, exec_lo, s9
	s_branch .LBB9_24
.LBB9_18:
                                        ; implicit-def: $vgpr0_vgpr1
	s_cbranch_execz .LBB9_24
; %bb.19:
	v_mov_b32_e32 v3, s8
	s_cmp_ge_u32 s1, s3
	s_cbranch_scc1 .LBB9_23
; %bb.20:
	s_waitcnt vmcnt(0)
	v_dual_mov_b32 v7, s3 :: v_dual_and_b32 v6, s18, v5
	v_mov_b32_e32 v3, s8
	v_mov_b32_e32 v1, 0
	s_mov_b32 s1, 0
	.p2align	6
.LBB9_21:                               ; =>This Inner Loop Header: Depth=1
	s_delay_alu instid0(VALU_DEP_2) | instskip(NEXT) | instid1(VALU_DEP_1)
	v_add_nc_u32_e32 v0, v3, v7
	v_lshrrev_b32_e32 v0, 1, v0
	s_delay_alu instid0(VALU_DEP_1) | instskip(NEXT) | instid1(VALU_DEP_1)
	v_lshlrev_b64 v[8:9], 2, v[0:1]
	v_add_co_u32 v8, vcc_lo, s4, v8
	s_delay_alu instid0(VALU_DEP_2) | instskip(SKIP_3) | instid1(VALU_DEP_1)
	v_add_co_ci_u32_e32 v9, vcc_lo, s5, v9, vcc_lo
	global_load_b32 v8, v[8:9], off
	s_waitcnt vmcnt(0)
	v_and_b32_e32 v8, s18, v8
	v_cmp_gt_i32_e32 vcc_lo, v8, v6
	v_cndmask_b32_e64 v9, 0, 1, vcc_lo
	v_cmp_le_i32_e32 vcc_lo, v6, v8
	v_cndmask_b32_e64 v8, 0, 1, vcc_lo
	s_delay_alu instid0(VALU_DEP_1) | instskip(SKIP_1) | instid1(VALU_DEP_2)
	v_cndmask_b32_e64 v8, v8, v9, s0
	v_add_nc_u32_e32 v9, 1, v0
	v_and_b32_e32 v8, 1, v8
	s_delay_alu instid0(VALU_DEP_1) | instskip(NEXT) | instid1(VALU_DEP_3)
	v_cmp_eq_u32_e32 vcc_lo, 1, v8
	v_cndmask_b32_e32 v3, v3, v9, vcc_lo
	v_cndmask_b32_e32 v7, v0, v7, vcc_lo
	s_delay_alu instid0(VALU_DEP_1) | instskip(SKIP_1) | instid1(SALU_CYCLE_1)
	v_cmp_ge_u32_e32 vcc_lo, v3, v7
	s_or_b32 s1, vcc_lo, s1
	s_and_not1_b32 exec_lo, exec_lo, s1
	s_cbranch_execnz .LBB9_21
; %bb.22:
	s_or_b32 exec_lo, exec_lo, s1
.LBB9_23:
	s_delay_alu instid0(VALU_DEP_1) | instskip(SKIP_1) | instid1(VALU_DEP_1)
	v_dual_mov_b32 v1, 0 :: v_dual_add_nc_u32 v0, v3, v2
	s_mov_b32 s13, -1
	v_lshlrev_b64 v[1:2], 2, v[0:1]
	v_add_co_u32 v0, s0, s10, v0
	s_delay_alu instid0(VALU_DEP_2) | instskip(NEXT) | instid1(VALU_DEP_3)
	v_add_co_u32 v6, vcc_lo, s6, v1
	v_add_co_ci_u32_e32 v7, vcc_lo, s7, v2, vcc_lo
	v_add_co_ci_u32_e64 v1, null, s11, 0, s0
	s_waitcnt vmcnt(0)
	global_store_b32 v[6:7], v5, off
.LBB9_24:
	s_and_b32 exec_lo, exec_lo, s13
	s_cbranch_execz .LBB9_26
; %bb.25:
	s_waitcnt vmcnt(1)
	global_store_b8 v[0:1], v4, off
.LBB9_26:
	s_nop 0
	s_sendmsg sendmsg(MSG_DEALLOC_VGPRS)
	s_endpgm
	.section	.rodata,"a",@progbits
	.p2align	6, 0x0
	.amdhsa_kernel _ZN7rocprim17ROCPRIM_304000_NS6detail33device_block_merge_oddeven_kernelINS1_37wrapped_merge_sort_block_merge_configINS0_14default_configEiN2at4cuda3cub6detail10OpaqueTypeILi1EEEEEPiSC_PSA_SD_jNS1_19radix_merge_compareILb1ELb1EiNS0_19identity_decomposerEEEEEvT0_T1_T2_T3_T4_SL_T5_
		.amdhsa_group_segment_fixed_size 0
		.amdhsa_private_segment_fixed_size 0
		.amdhsa_kernarg_size 44
		.amdhsa_user_sgpr_count 15
		.amdhsa_user_sgpr_dispatch_ptr 0
		.amdhsa_user_sgpr_queue_ptr 0
		.amdhsa_user_sgpr_kernarg_segment_ptr 1
		.amdhsa_user_sgpr_dispatch_id 0
		.amdhsa_user_sgpr_private_segment_size 0
		.amdhsa_wavefront_size32 1
		.amdhsa_uses_dynamic_stack 0
		.amdhsa_enable_private_segment 0
		.amdhsa_system_sgpr_workgroup_id_x 1
		.amdhsa_system_sgpr_workgroup_id_y 0
		.amdhsa_system_sgpr_workgroup_id_z 0
		.amdhsa_system_sgpr_workgroup_info 0
		.amdhsa_system_vgpr_workitem_id 0
		.amdhsa_next_free_vgpr 10
		.amdhsa_next_free_sgpr 20
		.amdhsa_reserve_vcc 1
		.amdhsa_float_round_mode_32 0
		.amdhsa_float_round_mode_16_64 0
		.amdhsa_float_denorm_mode_32 3
		.amdhsa_float_denorm_mode_16_64 3
		.amdhsa_dx10_clamp 1
		.amdhsa_ieee_mode 1
		.amdhsa_fp16_overflow 0
		.amdhsa_workgroup_processor_mode 1
		.amdhsa_memory_ordered 1
		.amdhsa_forward_progress 0
		.amdhsa_shared_vgpr_count 0
		.amdhsa_exception_fp_ieee_invalid_op 0
		.amdhsa_exception_fp_denorm_src 0
		.amdhsa_exception_fp_ieee_div_zero 0
		.amdhsa_exception_fp_ieee_overflow 0
		.amdhsa_exception_fp_ieee_underflow 0
		.amdhsa_exception_fp_ieee_inexact 0
		.amdhsa_exception_int_div_zero 0
	.end_amdhsa_kernel
	.section	.text._ZN7rocprim17ROCPRIM_304000_NS6detail33device_block_merge_oddeven_kernelINS1_37wrapped_merge_sort_block_merge_configINS0_14default_configEiN2at4cuda3cub6detail10OpaqueTypeILi1EEEEEPiSC_PSA_SD_jNS1_19radix_merge_compareILb1ELb1EiNS0_19identity_decomposerEEEEEvT0_T1_T2_T3_T4_SL_T5_,"axG",@progbits,_ZN7rocprim17ROCPRIM_304000_NS6detail33device_block_merge_oddeven_kernelINS1_37wrapped_merge_sort_block_merge_configINS0_14default_configEiN2at4cuda3cub6detail10OpaqueTypeILi1EEEEEPiSC_PSA_SD_jNS1_19radix_merge_compareILb1ELb1EiNS0_19identity_decomposerEEEEEvT0_T1_T2_T3_T4_SL_T5_,comdat
.Lfunc_end9:
	.size	_ZN7rocprim17ROCPRIM_304000_NS6detail33device_block_merge_oddeven_kernelINS1_37wrapped_merge_sort_block_merge_configINS0_14default_configEiN2at4cuda3cub6detail10OpaqueTypeILi1EEEEEPiSC_PSA_SD_jNS1_19radix_merge_compareILb1ELb1EiNS0_19identity_decomposerEEEEEvT0_T1_T2_T3_T4_SL_T5_, .Lfunc_end9-_ZN7rocprim17ROCPRIM_304000_NS6detail33device_block_merge_oddeven_kernelINS1_37wrapped_merge_sort_block_merge_configINS0_14default_configEiN2at4cuda3cub6detail10OpaqueTypeILi1EEEEEPiSC_PSA_SD_jNS1_19radix_merge_compareILb1ELb1EiNS0_19identity_decomposerEEEEEvT0_T1_T2_T3_T4_SL_T5_
                                        ; -- End function
	.section	.AMDGPU.csdata,"",@progbits
; Kernel info:
; codeLenInByte = 972
; NumSgprs: 22
; NumVgprs: 10
; ScratchSize: 0
; MemoryBound: 0
; FloatMode: 240
; IeeeMode: 1
; LDSByteSize: 0 bytes/workgroup (compile time only)
; SGPRBlocks: 2
; VGPRBlocks: 1
; NumSGPRsForWavesPerEU: 22
; NumVGPRsForWavesPerEU: 10
; Occupancy: 16
; WaveLimiterHint : 0
; COMPUTE_PGM_RSRC2:SCRATCH_EN: 0
; COMPUTE_PGM_RSRC2:USER_SGPR: 15
; COMPUTE_PGM_RSRC2:TRAP_HANDLER: 0
; COMPUTE_PGM_RSRC2:TGID_X_EN: 1
; COMPUTE_PGM_RSRC2:TGID_Y_EN: 0
; COMPUTE_PGM_RSRC2:TGID_Z_EN: 0
; COMPUTE_PGM_RSRC2:TIDIG_COMP_CNT: 0
	.section	.text._ZN7rocprim17ROCPRIM_304000_NS6detail26onesweep_histograms_kernelINS1_34wrapped_radix_sort_onesweep_configINS0_14default_configEiN2at4cuda3cub6detail10OpaqueTypeILi1EEEEELb1EPKimNS0_19identity_decomposerEEEvT1_PT2_SG_SG_T3_jj,"axG",@progbits,_ZN7rocprim17ROCPRIM_304000_NS6detail26onesweep_histograms_kernelINS1_34wrapped_radix_sort_onesweep_configINS0_14default_configEiN2at4cuda3cub6detail10OpaqueTypeILi1EEEEELb1EPKimNS0_19identity_decomposerEEEvT1_PT2_SG_SG_T3_jj,comdat
	.protected	_ZN7rocprim17ROCPRIM_304000_NS6detail26onesweep_histograms_kernelINS1_34wrapped_radix_sort_onesweep_configINS0_14default_configEiN2at4cuda3cub6detail10OpaqueTypeILi1EEEEELb1EPKimNS0_19identity_decomposerEEEvT1_PT2_SG_SG_T3_jj ; -- Begin function _ZN7rocprim17ROCPRIM_304000_NS6detail26onesweep_histograms_kernelINS1_34wrapped_radix_sort_onesweep_configINS0_14default_configEiN2at4cuda3cub6detail10OpaqueTypeILi1EEEEELb1EPKimNS0_19identity_decomposerEEEvT1_PT2_SG_SG_T3_jj
	.globl	_ZN7rocprim17ROCPRIM_304000_NS6detail26onesweep_histograms_kernelINS1_34wrapped_radix_sort_onesweep_configINS0_14default_configEiN2at4cuda3cub6detail10OpaqueTypeILi1EEEEELb1EPKimNS0_19identity_decomposerEEEvT1_PT2_SG_SG_T3_jj
	.p2align	8
	.type	_ZN7rocprim17ROCPRIM_304000_NS6detail26onesweep_histograms_kernelINS1_34wrapped_radix_sort_onesweep_configINS0_14default_configEiN2at4cuda3cub6detail10OpaqueTypeILi1EEEEELb1EPKimNS0_19identity_decomposerEEEvT1_PT2_SG_SG_T3_jj,@function
_ZN7rocprim17ROCPRIM_304000_NS6detail26onesweep_histograms_kernelINS1_34wrapped_radix_sort_onesweep_configINS0_14default_configEiN2at4cuda3cub6detail10OpaqueTypeILi1EEEEELb1EPKimNS0_19identity_decomposerEEEvT1_PT2_SG_SG_T3_jj: ; @_ZN7rocprim17ROCPRIM_304000_NS6detail26onesweep_histograms_kernelINS1_34wrapped_radix_sort_onesweep_configINS0_14default_configEiN2at4cuda3cub6detail10OpaqueTypeILi1EEEEELb1EPKimNS0_19identity_decomposerEEEvT1_PT2_SG_SG_T3_jj
; %bb.0:
	s_clause 0x1
	s_load_b256 s[20:27], s[0:1], 0x0
	s_load_b64 s[28:29], s[0:1], 0x24
	s_mov_b32 s2, s15
	s_mov_b32 s3, 0
	s_mul_i32 s1, s15, 0xb000
	v_lshlrev_b32_e32 v3, 2, v0
	s_waitcnt lgkmcnt(0)
	v_cmp_ge_u64_e64 s0, s[2:3], s[26:27]
	s_mul_hi_u32 s2, s15, 0xb000
	s_add_u32 s30, s20, s1
	s_addc_u32 s31, s21, s2
	s_delay_alu instid0(VALU_DEP_1)
	s_and_b32 vcc_lo, exec_lo, s0
	s_mov_b32 s0, -1
	s_cbranch_vccz .LBB10_142
; %bb.1:
	s_mul_i32 s21, s26, 0xffffd400
	v_add_co_u32 v1, s0, s30, v3
	s_add_i32 s21, s21, s24
	v_add_co_ci_u32_e64 v2, null, s31, 0, s0
	v_cmp_gt_u32_e64 s20, s21, v0
                                        ; implicit-def: $vgpr25
	s_delay_alu instid0(VALU_DEP_1)
	s_and_saveexec_b32 s0, s20
	s_cbranch_execz .LBB10_3
; %bb.2:
	global_load_b32 v25, v[1:2], off
.LBB10_3:
	s_or_b32 exec_lo, exec_lo, s0
	v_or_b32_e32 v4, 0x200, v0
                                        ; implicit-def: $vgpr24
	s_delay_alu instid0(VALU_DEP_1) | instskip(NEXT) | instid1(VALU_DEP_1)
	v_cmp_gt_u32_e64 s19, s21, v4
	s_and_saveexec_b32 s0, s19
	s_cbranch_execz .LBB10_5
; %bb.4:
	global_load_b32 v24, v[1:2], off offset:2048
.LBB10_5:
	s_or_b32 exec_lo, exec_lo, s0
	v_or_b32_e32 v4, 0x400, v0
                                        ; implicit-def: $vgpr23
	s_delay_alu instid0(VALU_DEP_1) | instskip(NEXT) | instid1(VALU_DEP_1)
	v_cmp_gt_u32_e64 s18, s21, v4
	s_and_saveexec_b32 s0, s18
	s_cbranch_execz .LBB10_7
; %bb.6:
	v_add_co_u32 v4, vcc_lo, 0x1000, v1
	v_add_co_ci_u32_e32 v5, vcc_lo, 0, v2, vcc_lo
	global_load_b32 v23, v[4:5], off
.LBB10_7:
	s_or_b32 exec_lo, exec_lo, s0
	v_or_b32_e32 v4, 0x600, v0
                                        ; implicit-def: $vgpr22
	s_delay_alu instid0(VALU_DEP_1) | instskip(NEXT) | instid1(VALU_DEP_1)
	v_cmp_gt_u32_e64 s17, s21, v4
	s_and_saveexec_b32 s0, s17
	s_cbranch_execz .LBB10_9
; %bb.8:
	v_add_co_u32 v4, vcc_lo, 0x1000, v1
	v_add_co_ci_u32_e32 v5, vcc_lo, 0, v2, vcc_lo
	global_load_b32 v22, v[4:5], off offset:2048
.LBB10_9:
	s_or_b32 exec_lo, exec_lo, s0
	v_or_b32_e32 v4, 0x800, v0
                                        ; implicit-def: $vgpr21
	s_delay_alu instid0(VALU_DEP_1) | instskip(NEXT) | instid1(VALU_DEP_1)
	v_cmp_gt_u32_e64 s16, s21, v4
	s_and_saveexec_b32 s0, s16
	s_cbranch_execz .LBB10_11
; %bb.10:
	v_add_co_u32 v4, vcc_lo, 0x2000, v1
	v_add_co_ci_u32_e32 v5, vcc_lo, 0, v2, vcc_lo
	global_load_b32 v21, v[4:5], off
.LBB10_11:
	s_or_b32 exec_lo, exec_lo, s0
	v_or_b32_e32 v4, 0xa00, v0
                                        ; implicit-def: $vgpr20
	s_delay_alu instid0(VALU_DEP_1) | instskip(NEXT) | instid1(VALU_DEP_1)
	v_cmp_gt_u32_e64 s15, s21, v4
	s_and_saveexec_b32 s0, s15
	s_cbranch_execz .LBB10_13
; %bb.12:
	v_add_co_u32 v4, vcc_lo, 0x2000, v1
	v_add_co_ci_u32_e32 v5, vcc_lo, 0, v2, vcc_lo
	global_load_b32 v20, v[4:5], off offset:2048
.LBB10_13:
	s_or_b32 exec_lo, exec_lo, s0
	v_or_b32_e32 v26, 0xc00, v0
                                        ; implicit-def: $vgpr19
	s_delay_alu instid0(VALU_DEP_1) | instskip(NEXT) | instid1(VALU_DEP_1)
	v_cmp_gt_u32_e64 s14, s21, v26
	s_and_saveexec_b32 s0, s14
	s_cbranch_execz .LBB10_15
; %bb.14:
	v_add_co_u32 v4, vcc_lo, 0x3000, v1
	v_add_co_ci_u32_e32 v5, vcc_lo, 0, v2, vcc_lo
	global_load_b32 v19, v[4:5], off
.LBB10_15:
	s_or_b32 exec_lo, exec_lo, s0
	v_or_b32_e32 v4, 0xe00, v0
                                        ; implicit-def: $vgpr18
	s_delay_alu instid0(VALU_DEP_1) | instskip(NEXT) | instid1(VALU_DEP_1)
	v_cmp_gt_u32_e64 s13, s21, v4
	s_and_saveexec_b32 s0, s13
	s_cbranch_execz .LBB10_17
; %bb.16:
	v_add_co_u32 v4, vcc_lo, 0x3000, v1
	v_add_co_ci_u32_e32 v5, vcc_lo, 0, v2, vcc_lo
	global_load_b32 v18, v[4:5], off offset:2048
.LBB10_17:
	s_or_b32 exec_lo, exec_lo, s0
	v_or_b32_e32 v4, 0x1000, v0
                                        ; implicit-def: $vgpr17
	s_delay_alu instid0(VALU_DEP_1) | instskip(NEXT) | instid1(VALU_DEP_1)
	v_cmp_gt_u32_e64 s12, s21, v4
	s_and_saveexec_b32 s0, s12
	s_cbranch_execz .LBB10_19
; %bb.18:
	v_add_co_u32 v4, vcc_lo, 0x4000, v1
	v_add_co_ci_u32_e32 v5, vcc_lo, 0, v2, vcc_lo
	global_load_b32 v17, v[4:5], off
.LBB10_19:
	s_or_b32 exec_lo, exec_lo, s0
	v_or_b32_e32 v4, 0x1200, v0
                                        ; implicit-def: $vgpr16
	s_delay_alu instid0(VALU_DEP_1) | instskip(NEXT) | instid1(VALU_DEP_1)
	v_cmp_gt_u32_e64 s11, s21, v4
	s_and_saveexec_b32 s0, s11
	s_cbranch_execz .LBB10_21
; %bb.20:
	v_add_co_u32 v4, vcc_lo, 0x4000, v1
	v_add_co_ci_u32_e32 v5, vcc_lo, 0, v2, vcc_lo
	global_load_b32 v16, v[4:5], off offset:2048
.LBB10_21:
	s_or_b32 exec_lo, exec_lo, s0
	v_or_b32_e32 v4, 0x1400, v0
                                        ; implicit-def: $vgpr15
	s_delay_alu instid0(VALU_DEP_1) | instskip(NEXT) | instid1(VALU_DEP_1)
	v_cmp_gt_u32_e64 s10, s21, v4
	s_and_saveexec_b32 s0, s10
	s_cbranch_execz .LBB10_23
; %bb.22:
	v_add_co_u32 v4, vcc_lo, 0x5000, v1
	v_add_co_ci_u32_e32 v5, vcc_lo, 0, v2, vcc_lo
	global_load_b32 v15, v[4:5], off
.LBB10_23:
	s_or_b32 exec_lo, exec_lo, s0
	v_or_b32_e32 v4, 0x1600, v0
                                        ; implicit-def: $vgpr14
	s_delay_alu instid0(VALU_DEP_1) | instskip(NEXT) | instid1(VALU_DEP_1)
	v_cmp_gt_u32_e64 s9, s21, v4
	s_and_saveexec_b32 s0, s9
	s_cbranch_execz .LBB10_25
; %bb.24:
	v_add_co_u32 v4, vcc_lo, 0x5000, v1
	v_add_co_ci_u32_e32 v5, vcc_lo, 0, v2, vcc_lo
	global_load_b32 v14, v[4:5], off offset:2048
.LBB10_25:
	s_or_b32 exec_lo, exec_lo, s0
	v_or_b32_e32 v4, 0x1800, v0
                                        ; implicit-def: $vgpr13
	s_delay_alu instid0(VALU_DEP_1) | instskip(NEXT) | instid1(VALU_DEP_1)
	v_cmp_gt_u32_e64 s8, s21, v4
	s_and_saveexec_b32 s0, s8
	s_cbranch_execz .LBB10_27
; %bb.26:
	v_add_co_u32 v4, vcc_lo, 0x6000, v1
	v_add_co_ci_u32_e32 v5, vcc_lo, 0, v2, vcc_lo
	global_load_b32 v13, v[4:5], off
.LBB10_27:
	s_or_b32 exec_lo, exec_lo, s0
	v_or_b32_e32 v4, 0x1a00, v0
                                        ; implicit-def: $vgpr12
	s_delay_alu instid0(VALU_DEP_1) | instskip(NEXT) | instid1(VALU_DEP_1)
	v_cmp_gt_u32_e64 s7, s21, v4
	s_and_saveexec_b32 s0, s7
	s_cbranch_execz .LBB10_29
; %bb.28:
	v_add_co_u32 v4, vcc_lo, 0x6000, v1
	v_add_co_ci_u32_e32 v5, vcc_lo, 0, v2, vcc_lo
	global_load_b32 v12, v[4:5], off offset:2048
.LBB10_29:
	s_or_b32 exec_lo, exec_lo, s0
	v_or_b32_e32 v4, 0x1c00, v0
                                        ; implicit-def: $vgpr11
	s_delay_alu instid0(VALU_DEP_1) | instskip(NEXT) | instid1(VALU_DEP_1)
	v_cmp_gt_u32_e64 s6, s21, v4
	s_and_saveexec_b32 s0, s6
	s_cbranch_execz .LBB10_31
; %bb.30:
	v_add_co_u32 v4, vcc_lo, 0x7000, v1
	v_add_co_ci_u32_e32 v5, vcc_lo, 0, v2, vcc_lo
	global_load_b32 v11, v[4:5], off
.LBB10_31:
	s_or_b32 exec_lo, exec_lo, s0
	v_or_b32_e32 v4, 0x1e00, v0
                                        ; implicit-def: $vgpr10
	s_delay_alu instid0(VALU_DEP_1) | instskip(NEXT) | instid1(VALU_DEP_1)
	v_cmp_gt_u32_e64 s5, s21, v4
	s_and_saveexec_b32 s0, s5
	s_cbranch_execz .LBB10_33
; %bb.32:
	v_add_co_u32 v4, vcc_lo, 0x7000, v1
	v_add_co_ci_u32_e32 v5, vcc_lo, 0, v2, vcc_lo
	global_load_b32 v10, v[4:5], off offset:2048
.LBB10_33:
	s_or_b32 exec_lo, exec_lo, s0
	v_or_b32_e32 v4, 0x2000, v0
                                        ; implicit-def: $vgpr9
	s_delay_alu instid0(VALU_DEP_1) | instskip(NEXT) | instid1(VALU_DEP_1)
	v_cmp_gt_u32_e64 s4, s21, v4
	s_and_saveexec_b32 s0, s4
	s_cbranch_execz .LBB10_35
; %bb.34:
	v_add_co_u32 v4, vcc_lo, 0x8000, v1
	v_add_co_ci_u32_e32 v5, vcc_lo, 0, v2, vcc_lo
	global_load_b32 v9, v[4:5], off
.LBB10_35:
	s_or_b32 exec_lo, exec_lo, s0
	v_or_b32_e32 v4, 0x2200, v0
                                        ; implicit-def: $vgpr8
	s_delay_alu instid0(VALU_DEP_1) | instskip(NEXT) | instid1(VALU_DEP_1)
	v_cmp_gt_u32_e64 s3, s21, v4
	s_and_saveexec_b32 s0, s3
	s_cbranch_execz .LBB10_37
; %bb.36:
	v_add_co_u32 v4, vcc_lo, 0x8000, v1
	v_add_co_ci_u32_e32 v5, vcc_lo, 0, v2, vcc_lo
	global_load_b32 v8, v[4:5], off offset:2048
.LBB10_37:
	s_or_b32 exec_lo, exec_lo, s0
	v_or_b32_e32 v4, 0x2400, v0
                                        ; implicit-def: $vgpr7
	s_delay_alu instid0(VALU_DEP_1) | instskip(NEXT) | instid1(VALU_DEP_1)
	v_cmp_gt_u32_e64 s2, s21, v4
	s_and_saveexec_b32 s0, s2
	s_cbranch_execz .LBB10_39
; %bb.38:
	v_add_co_u32 v4, vcc_lo, 0x9000, v1
	v_add_co_ci_u32_e32 v5, vcc_lo, 0, v2, vcc_lo
	global_load_b32 v7, v[4:5], off
.LBB10_39:
	s_or_b32 exec_lo, exec_lo, s0
	v_or_b32_e32 v4, 0x2600, v0
                                        ; implicit-def: $vgpr6
	s_delay_alu instid0(VALU_DEP_1) | instskip(NEXT) | instid1(VALU_DEP_1)
	v_cmp_gt_u32_e64 s1, s21, v4
	s_and_saveexec_b32 s0, s1
	s_cbranch_execz .LBB10_41
; %bb.40:
	v_add_co_u32 v4, vcc_lo, 0x9000, v1
	v_add_co_ci_u32_e32 v5, vcc_lo, 0, v2, vcc_lo
	global_load_b32 v6, v[4:5], off offset:2048
.LBB10_41:
	s_or_b32 exec_lo, exec_lo, s0
	v_or_b32_e32 v4, 0x2800, v0
                                        ; implicit-def: $vgpr5
	s_delay_alu instid0(VALU_DEP_1) | instskip(NEXT) | instid1(VALU_DEP_1)
	v_cmp_gt_u32_e64 s0, s21, v4
	s_and_saveexec_b32 s24, s0
	s_cbranch_execz .LBB10_43
; %bb.42:
	v_add_co_u32 v4, vcc_lo, 0xa000, v1
	v_add_co_ci_u32_e32 v5, vcc_lo, 0, v2, vcc_lo
	global_load_b32 v4, v[4:5], off
	s_waitcnt vmcnt(0)
	v_xor_b32_e32 v5, 0x7fffffff, v4
.LBB10_43:
	s_or_b32 exec_lo, exec_lo, s24
	v_or_b32_e32 v4, 0x2a00, v0
	s_delay_alu instid0(VALU_DEP_1)
	v_cmp_gt_u32_e32 vcc_lo, s21, v4
                                        ; implicit-def: $vgpr4
	s_and_saveexec_b32 s24, vcc_lo
	s_cbranch_execz .LBB10_45
; %bb.44:
	v_add_co_u32 v1, s21, 0xa000, v1
	s_delay_alu instid0(VALU_DEP_1)
	v_add_co_ci_u32_e64 v2, s21, 0, v2, s21
	global_load_b32 v1, v[1:2], off offset:2048
	s_waitcnt vmcnt(0)
	v_xor_b32_e32 v4, 0x7fffffff, v1
.LBB10_45:
	s_or_b32 exec_lo, exec_lo, s24
	v_mov_b32_e32 v1, 0
	s_mov_b32 s24, exec_lo
	ds_store_2addr_stride64_b32 v3, v1, v1 offset1:8
	ds_store_2addr_stride64_b32 v3, v1, v1 offset0:16 offset1:24
	ds_store_2addr_stride64_b32 v3, v1, v1 offset0:32 offset1:40
	ds_store_b32 v3, v1 offset:12288
	v_cmpx_gt_u32_e32 0xe00, v26
	s_cbranch_execz .LBB10_47
; %bb.46:
	ds_store_b32 v3, v1 offset:14336
.LBB10_47:
	s_or_b32 exec_lo, exec_lo, s24
	s_cmp_gt_u32 s29, s28
	s_waitcnt vmcnt(0) lgkmcnt(0)
	s_cselect_b32 s21, -1, 0
	s_cmp_le_u32 s29, s28
	s_barrier
	buffer_gl0_inv
	s_cbranch_scc1 .LBB10_136
; %bb.48:
	v_and_b32_e32 v1, 3, v0
	v_xor_b32_e32 v2, 0x7fffffff, v25
	s_sub_i32 s24, s29, s28
	s_mov_b32 s26, s28
	s_mov_b32 s25, s24
	v_lshlrev_b32_e32 v1, 2, v1
	s_delay_alu instid0(VALU_DEP_1)
	v_dual_mov_b32 v25, 1 :: v_dual_mov_b32 v26, v1
	s_branch .LBB10_50
	.p2align	6
.LBB10_49:                              ;   in Loop: Header=BB10_50 Depth=1
	s_or_b32 exec_lo, exec_lo, s27
	v_add_nc_u32_e32 v26, 0x1000, v26
	s_add_i32 s26, s26, 8
	s_add_i32 s25, s25, -8
	s_cmp_lt_u32 s26, s29
	s_cbranch_scc0 .LBB10_52
.LBB10_50:                              ; =>This Inner Loop Header: Depth=1
	s_and_saveexec_b32 s27, s20
	s_cbranch_execz .LBB10_49
; %bb.51:                               ;   in Loop: Header=BB10_50 Depth=1
	v_lshrrev_b32_e32 v27, s26, v2
	s_min_u32 s33, s25, 8
	s_delay_alu instid0(VALU_DEP_1) | instid1(SALU_CYCLE_1)
	v_bfe_u32 v27, v27, 0, s33
	s_delay_alu instid0(VALU_DEP_1)
	v_lshl_add_u32 v27, v27, 4, v26
	ds_add_u32 v27, v25
	s_branch .LBB10_49
.LBB10_52:
	v_xor_b32_e32 v2, 0x7fffffff, v24
	v_dual_mov_b32 v24, 1 :: v_dual_mov_b32 v25, v1
	s_mov_b32 s20, s24
	s_mov_b32 s25, s28
	s_branch .LBB10_54
	.p2align	6
.LBB10_53:                              ;   in Loop: Header=BB10_54 Depth=1
	s_or_b32 exec_lo, exec_lo, s26
	v_add_nc_u32_e32 v25, 0x1000, v25
	s_add_i32 s25, s25, 8
	s_add_i32 s20, s20, -8
	s_cmp_lt_u32 s25, s29
	s_cbranch_scc0 .LBB10_56
.LBB10_54:                              ; =>This Inner Loop Header: Depth=1
	s_and_saveexec_b32 s26, s19
	s_cbranch_execz .LBB10_53
; %bb.55:                               ;   in Loop: Header=BB10_54 Depth=1
	v_lshrrev_b32_e32 v26, s25, v2
	s_min_u32 s27, s20, 8
	s_delay_alu instid0(VALU_DEP_1) | instid1(SALU_CYCLE_1)
	v_bfe_u32 v26, v26, 0, s27
	s_delay_alu instid0(VALU_DEP_1)
	v_lshl_add_u32 v26, v26, 4, v25
	ds_add_u32 v26, v24
	s_branch .LBB10_53
.LBB10_56:
	v_xor_b32_e32 v2, 0x7fffffff, v23
	v_dual_mov_b32 v23, 1 :: v_dual_mov_b32 v24, v1
	s_mov_b32 s19, s24
	s_mov_b32 s20, s28
	s_branch .LBB10_58
	.p2align	6
.LBB10_57:                              ;   in Loop: Header=BB10_58 Depth=1
	s_or_b32 exec_lo, exec_lo, s25
	v_add_nc_u32_e32 v24, 0x1000, v24
	s_add_i32 s20, s20, 8
	s_add_i32 s19, s19, -8
	s_cmp_lt_u32 s20, s29
	s_cbranch_scc0 .LBB10_60
.LBB10_58:                              ; =>This Inner Loop Header: Depth=1
	s_and_saveexec_b32 s25, s18
	s_cbranch_execz .LBB10_57
; %bb.59:                               ;   in Loop: Header=BB10_58 Depth=1
	v_lshrrev_b32_e32 v25, s20, v2
	s_min_u32 s26, s19, 8
	s_delay_alu instid0(VALU_DEP_1) | instid1(SALU_CYCLE_1)
	v_bfe_u32 v25, v25, 0, s26
	s_delay_alu instid0(VALU_DEP_1)
	v_lshl_add_u32 v25, v25, 4, v24
	ds_add_u32 v25, v23
	s_branch .LBB10_57
.LBB10_60:
	v_xor_b32_e32 v2, 0x7fffffff, v22
	v_dual_mov_b32 v22, 1 :: v_dual_mov_b32 v23, v1
	s_mov_b32 s18, s24
	s_mov_b32 s19, s28
	s_branch .LBB10_62
	.p2align	6
.LBB10_61:                              ;   in Loop: Header=BB10_62 Depth=1
	s_or_b32 exec_lo, exec_lo, s20
	v_add_nc_u32_e32 v23, 0x1000, v23
	s_add_i32 s19, s19, 8
	s_add_i32 s18, s18, -8
	s_cmp_lt_u32 s19, s29
	s_cbranch_scc0 .LBB10_64
.LBB10_62:                              ; =>This Inner Loop Header: Depth=1
	s_and_saveexec_b32 s20, s17
	s_cbranch_execz .LBB10_61
; %bb.63:                               ;   in Loop: Header=BB10_62 Depth=1
	v_lshrrev_b32_e32 v24, s19, v2
	s_min_u32 s25, s18, 8
	s_delay_alu instid0(VALU_DEP_1) | instid1(SALU_CYCLE_1)
	v_bfe_u32 v24, v24, 0, s25
	s_delay_alu instid0(VALU_DEP_1)
	v_lshl_add_u32 v24, v24, 4, v23
	ds_add_u32 v24, v22
	s_branch .LBB10_61
.LBB10_64:
	v_xor_b32_e32 v2, 0x7fffffff, v21
	v_dual_mov_b32 v21, 1 :: v_dual_mov_b32 v22, v1
	s_mov_b32 s17, s24
	s_mov_b32 s18, s28
	s_branch .LBB10_66
	.p2align	6
.LBB10_65:                              ;   in Loop: Header=BB10_66 Depth=1
	s_or_b32 exec_lo, exec_lo, s19
	v_add_nc_u32_e32 v22, 0x1000, v22
	s_add_i32 s18, s18, 8
	s_add_i32 s17, s17, -8
	s_cmp_lt_u32 s18, s29
	s_cbranch_scc0 .LBB10_68
.LBB10_66:                              ; =>This Inner Loop Header: Depth=1
	s_and_saveexec_b32 s19, s16
	s_cbranch_execz .LBB10_65
; %bb.67:                               ;   in Loop: Header=BB10_66 Depth=1
	v_lshrrev_b32_e32 v23, s18, v2
	s_min_u32 s20, s17, 8
	s_delay_alu instid0(VALU_DEP_1) | instid1(SALU_CYCLE_1)
	v_bfe_u32 v23, v23, 0, s20
	s_delay_alu instid0(VALU_DEP_1)
	v_lshl_add_u32 v23, v23, 4, v22
	ds_add_u32 v23, v21
	s_branch .LBB10_65
.LBB10_68:
	v_xor_b32_e32 v2, 0x7fffffff, v20
	v_dual_mov_b32 v20, 1 :: v_dual_mov_b32 v21, v1
	s_mov_b32 s16, s24
	s_mov_b32 s17, s28
	s_branch .LBB10_70
	.p2align	6
.LBB10_69:                              ;   in Loop: Header=BB10_70 Depth=1
	s_or_b32 exec_lo, exec_lo, s18
	v_add_nc_u32_e32 v21, 0x1000, v21
	s_add_i32 s17, s17, 8
	s_add_i32 s16, s16, -8
	s_cmp_lt_u32 s17, s29
	s_cbranch_scc0 .LBB10_72
.LBB10_70:                              ; =>This Inner Loop Header: Depth=1
	s_and_saveexec_b32 s18, s15
	s_cbranch_execz .LBB10_69
; %bb.71:                               ;   in Loop: Header=BB10_70 Depth=1
	v_lshrrev_b32_e32 v22, s17, v2
	s_min_u32 s19, s16, 8
	s_delay_alu instid0(VALU_DEP_1) | instid1(SALU_CYCLE_1)
	v_bfe_u32 v22, v22, 0, s19
	s_delay_alu instid0(VALU_DEP_1)
	v_lshl_add_u32 v22, v22, 4, v21
	ds_add_u32 v22, v20
	s_branch .LBB10_69
.LBB10_72:
	v_xor_b32_e32 v2, 0x7fffffff, v19
	v_dual_mov_b32 v19, 1 :: v_dual_mov_b32 v20, v1
	s_mov_b32 s15, s24
	s_mov_b32 s16, s28
	s_branch .LBB10_74
	.p2align	6
.LBB10_73:                              ;   in Loop: Header=BB10_74 Depth=1
	s_or_b32 exec_lo, exec_lo, s17
	v_add_nc_u32_e32 v20, 0x1000, v20
	s_add_i32 s16, s16, 8
	s_add_i32 s15, s15, -8
	s_cmp_lt_u32 s16, s29
	s_cbranch_scc0 .LBB10_76
.LBB10_74:                              ; =>This Inner Loop Header: Depth=1
	s_and_saveexec_b32 s17, s14
	s_cbranch_execz .LBB10_73
; %bb.75:                               ;   in Loop: Header=BB10_74 Depth=1
	v_lshrrev_b32_e32 v21, s16, v2
	s_min_u32 s18, s15, 8
	s_delay_alu instid0(VALU_DEP_1) | instid1(SALU_CYCLE_1)
	v_bfe_u32 v21, v21, 0, s18
	s_delay_alu instid0(VALU_DEP_1)
	v_lshl_add_u32 v21, v21, 4, v20
	ds_add_u32 v21, v19
	s_branch .LBB10_73
.LBB10_76:
	v_xor_b32_e32 v2, 0x7fffffff, v18
	v_dual_mov_b32 v18, 1 :: v_dual_mov_b32 v19, v1
	s_mov_b32 s14, s24
	s_mov_b32 s15, s28
	s_branch .LBB10_78
	.p2align	6
.LBB10_77:                              ;   in Loop: Header=BB10_78 Depth=1
	s_or_b32 exec_lo, exec_lo, s16
	v_add_nc_u32_e32 v19, 0x1000, v19
	s_add_i32 s15, s15, 8
	s_add_i32 s14, s14, -8
	s_cmp_lt_u32 s15, s29
	s_cbranch_scc0 .LBB10_80
.LBB10_78:                              ; =>This Inner Loop Header: Depth=1
	s_and_saveexec_b32 s16, s13
	s_cbranch_execz .LBB10_77
; %bb.79:                               ;   in Loop: Header=BB10_78 Depth=1
	v_lshrrev_b32_e32 v20, s15, v2
	s_min_u32 s17, s14, 8
	s_delay_alu instid0(VALU_DEP_1) | instid1(SALU_CYCLE_1)
	v_bfe_u32 v20, v20, 0, s17
	s_delay_alu instid0(VALU_DEP_1)
	v_lshl_add_u32 v20, v20, 4, v19
	ds_add_u32 v20, v18
	s_branch .LBB10_77
.LBB10_80:
	v_xor_b32_e32 v2, 0x7fffffff, v17
	v_dual_mov_b32 v17, 1 :: v_dual_mov_b32 v18, v1
	s_mov_b32 s13, s24
	s_mov_b32 s14, s28
	s_branch .LBB10_82
	.p2align	6
.LBB10_81:                              ;   in Loop: Header=BB10_82 Depth=1
	s_or_b32 exec_lo, exec_lo, s15
	v_add_nc_u32_e32 v18, 0x1000, v18
	s_add_i32 s14, s14, 8
	s_add_i32 s13, s13, -8
	s_cmp_lt_u32 s14, s29
	s_cbranch_scc0 .LBB10_84
.LBB10_82:                              ; =>This Inner Loop Header: Depth=1
	s_and_saveexec_b32 s15, s12
	s_cbranch_execz .LBB10_81
; %bb.83:                               ;   in Loop: Header=BB10_82 Depth=1
	v_lshrrev_b32_e32 v19, s14, v2
	s_min_u32 s16, s13, 8
	s_delay_alu instid0(VALU_DEP_1) | instid1(SALU_CYCLE_1)
	v_bfe_u32 v19, v19, 0, s16
	s_delay_alu instid0(VALU_DEP_1)
	v_lshl_add_u32 v19, v19, 4, v18
	ds_add_u32 v19, v17
	s_branch .LBB10_81
.LBB10_84:
	v_xor_b32_e32 v2, 0x7fffffff, v16
	v_dual_mov_b32 v16, 1 :: v_dual_mov_b32 v17, v1
	s_mov_b32 s12, s24
	s_mov_b32 s13, s28
	s_branch .LBB10_86
	.p2align	6
.LBB10_85:                              ;   in Loop: Header=BB10_86 Depth=1
	s_or_b32 exec_lo, exec_lo, s14
	v_add_nc_u32_e32 v17, 0x1000, v17
	s_add_i32 s13, s13, 8
	s_add_i32 s12, s12, -8
	s_cmp_lt_u32 s13, s29
	s_cbranch_scc0 .LBB10_88
.LBB10_86:                              ; =>This Inner Loop Header: Depth=1
	s_and_saveexec_b32 s14, s11
	s_cbranch_execz .LBB10_85
; %bb.87:                               ;   in Loop: Header=BB10_86 Depth=1
	v_lshrrev_b32_e32 v18, s13, v2
	s_min_u32 s15, s12, 8
	s_delay_alu instid0(VALU_DEP_1) | instid1(SALU_CYCLE_1)
	v_bfe_u32 v18, v18, 0, s15
	s_delay_alu instid0(VALU_DEP_1)
	v_lshl_add_u32 v18, v18, 4, v17
	ds_add_u32 v18, v16
	s_branch .LBB10_85
.LBB10_88:
	v_xor_b32_e32 v2, 0x7fffffff, v15
	v_dual_mov_b32 v15, 1 :: v_dual_mov_b32 v16, v1
	s_mov_b32 s11, s24
	s_mov_b32 s12, s28
	s_branch .LBB10_90
	.p2align	6
.LBB10_89:                              ;   in Loop: Header=BB10_90 Depth=1
	s_or_b32 exec_lo, exec_lo, s13
	v_add_nc_u32_e32 v16, 0x1000, v16
	s_add_i32 s12, s12, 8
	s_add_i32 s11, s11, -8
	s_cmp_lt_u32 s12, s29
	s_cbranch_scc0 .LBB10_92
.LBB10_90:                              ; =>This Inner Loop Header: Depth=1
	s_and_saveexec_b32 s13, s10
	s_cbranch_execz .LBB10_89
; %bb.91:                               ;   in Loop: Header=BB10_90 Depth=1
	v_lshrrev_b32_e32 v17, s12, v2
	s_min_u32 s14, s11, 8
	s_delay_alu instid0(VALU_DEP_1) | instid1(SALU_CYCLE_1)
	v_bfe_u32 v17, v17, 0, s14
	s_delay_alu instid0(VALU_DEP_1)
	v_lshl_add_u32 v17, v17, 4, v16
	ds_add_u32 v17, v15
	s_branch .LBB10_89
.LBB10_92:
	v_xor_b32_e32 v2, 0x7fffffff, v14
	v_dual_mov_b32 v14, 1 :: v_dual_mov_b32 v15, v1
	s_mov_b32 s10, s24
	s_mov_b32 s11, s28
	s_branch .LBB10_94
	.p2align	6
.LBB10_93:                              ;   in Loop: Header=BB10_94 Depth=1
	s_or_b32 exec_lo, exec_lo, s12
	v_add_nc_u32_e32 v15, 0x1000, v15
	s_add_i32 s11, s11, 8
	s_add_i32 s10, s10, -8
	s_cmp_lt_u32 s11, s29
	s_cbranch_scc0 .LBB10_96
.LBB10_94:                              ; =>This Inner Loop Header: Depth=1
	s_and_saveexec_b32 s12, s9
	s_cbranch_execz .LBB10_93
; %bb.95:                               ;   in Loop: Header=BB10_94 Depth=1
	v_lshrrev_b32_e32 v16, s11, v2
	s_min_u32 s13, s10, 8
	s_delay_alu instid0(VALU_DEP_1) | instid1(SALU_CYCLE_1)
	v_bfe_u32 v16, v16, 0, s13
	s_delay_alu instid0(VALU_DEP_1)
	v_lshl_add_u32 v16, v16, 4, v15
	ds_add_u32 v16, v14
	s_branch .LBB10_93
.LBB10_96:
	v_xor_b32_e32 v2, 0x7fffffff, v13
	v_dual_mov_b32 v13, 1 :: v_dual_mov_b32 v14, v1
	s_mov_b32 s9, s24
	s_mov_b32 s10, s28
	s_branch .LBB10_98
	.p2align	6
.LBB10_97:                              ;   in Loop: Header=BB10_98 Depth=1
	s_or_b32 exec_lo, exec_lo, s11
	v_add_nc_u32_e32 v14, 0x1000, v14
	s_add_i32 s10, s10, 8
	s_add_i32 s9, s9, -8
	s_cmp_lt_u32 s10, s29
	s_cbranch_scc0 .LBB10_100
.LBB10_98:                              ; =>This Inner Loop Header: Depth=1
	s_and_saveexec_b32 s11, s8
	s_cbranch_execz .LBB10_97
; %bb.99:                               ;   in Loop: Header=BB10_98 Depth=1
	v_lshrrev_b32_e32 v15, s10, v2
	s_min_u32 s12, s9, 8
	s_delay_alu instid0(VALU_DEP_1) | instid1(SALU_CYCLE_1)
	v_bfe_u32 v15, v15, 0, s12
	s_delay_alu instid0(VALU_DEP_1)
	v_lshl_add_u32 v15, v15, 4, v14
	ds_add_u32 v15, v13
	s_branch .LBB10_97
.LBB10_100:
	v_xor_b32_e32 v2, 0x7fffffff, v12
	v_dual_mov_b32 v12, 1 :: v_dual_mov_b32 v13, v1
	s_mov_b32 s8, s24
	s_mov_b32 s9, s28
	s_branch .LBB10_102
	.p2align	6
.LBB10_101:                             ;   in Loop: Header=BB10_102 Depth=1
	s_or_b32 exec_lo, exec_lo, s10
	v_add_nc_u32_e32 v13, 0x1000, v13
	s_add_i32 s9, s9, 8
	s_add_i32 s8, s8, -8
	s_cmp_lt_u32 s9, s29
	s_cbranch_scc0 .LBB10_104
.LBB10_102:                             ; =>This Inner Loop Header: Depth=1
	s_and_saveexec_b32 s10, s7
	s_cbranch_execz .LBB10_101
; %bb.103:                              ;   in Loop: Header=BB10_102 Depth=1
	v_lshrrev_b32_e32 v14, s9, v2
	s_min_u32 s11, s8, 8
	s_delay_alu instid0(VALU_DEP_1) | instid1(SALU_CYCLE_1)
	v_bfe_u32 v14, v14, 0, s11
	s_delay_alu instid0(VALU_DEP_1)
	v_lshl_add_u32 v14, v14, 4, v13
	ds_add_u32 v14, v12
	s_branch .LBB10_101
.LBB10_104:
	v_xor_b32_e32 v2, 0x7fffffff, v11
	v_dual_mov_b32 v11, 1 :: v_dual_mov_b32 v12, v1
	s_mov_b32 s7, s24
	s_mov_b32 s8, s28
	s_branch .LBB10_106
	.p2align	6
.LBB10_105:                             ;   in Loop: Header=BB10_106 Depth=1
	s_or_b32 exec_lo, exec_lo, s9
	v_add_nc_u32_e32 v12, 0x1000, v12
	s_add_i32 s8, s8, 8
	s_add_i32 s7, s7, -8
	s_cmp_lt_u32 s8, s29
	s_cbranch_scc0 .LBB10_108
.LBB10_106:                             ; =>This Inner Loop Header: Depth=1
	s_and_saveexec_b32 s9, s6
	s_cbranch_execz .LBB10_105
; %bb.107:                              ;   in Loop: Header=BB10_106 Depth=1
	v_lshrrev_b32_e32 v13, s8, v2
	s_min_u32 s10, s7, 8
	s_delay_alu instid0(VALU_DEP_1) | instid1(SALU_CYCLE_1)
	v_bfe_u32 v13, v13, 0, s10
	s_delay_alu instid0(VALU_DEP_1)
	v_lshl_add_u32 v13, v13, 4, v12
	ds_add_u32 v13, v11
	s_branch .LBB10_105
.LBB10_108:
	v_xor_b32_e32 v2, 0x7fffffff, v10
	v_dual_mov_b32 v10, 1 :: v_dual_mov_b32 v11, v1
	s_mov_b32 s6, s24
	s_mov_b32 s7, s28
	s_branch .LBB10_110
	.p2align	6
.LBB10_109:                             ;   in Loop: Header=BB10_110 Depth=1
	s_or_b32 exec_lo, exec_lo, s8
	v_add_nc_u32_e32 v11, 0x1000, v11
	s_add_i32 s7, s7, 8
	s_add_i32 s6, s6, -8
	s_cmp_lt_u32 s7, s29
	s_cbranch_scc0 .LBB10_112
.LBB10_110:                             ; =>This Inner Loop Header: Depth=1
	s_and_saveexec_b32 s8, s5
	s_cbranch_execz .LBB10_109
; %bb.111:                              ;   in Loop: Header=BB10_110 Depth=1
	v_lshrrev_b32_e32 v12, s7, v2
	s_min_u32 s9, s6, 8
	s_delay_alu instid0(VALU_DEP_1) | instid1(SALU_CYCLE_1)
	v_bfe_u32 v12, v12, 0, s9
	s_delay_alu instid0(VALU_DEP_1)
	v_lshl_add_u32 v12, v12, 4, v11
	ds_add_u32 v12, v10
	s_branch .LBB10_109
.LBB10_112:
	v_xor_b32_e32 v2, 0x7fffffff, v9
	v_dual_mov_b32 v9, 1 :: v_dual_mov_b32 v10, v1
	s_mov_b32 s5, s24
	s_mov_b32 s6, s28
	s_branch .LBB10_114
	.p2align	6
.LBB10_113:                             ;   in Loop: Header=BB10_114 Depth=1
	s_or_b32 exec_lo, exec_lo, s7
	v_add_nc_u32_e32 v10, 0x1000, v10
	s_add_i32 s6, s6, 8
	s_add_i32 s5, s5, -8
	s_cmp_lt_u32 s6, s29
	s_cbranch_scc0 .LBB10_116
.LBB10_114:                             ; =>This Inner Loop Header: Depth=1
	s_and_saveexec_b32 s7, s4
	s_cbranch_execz .LBB10_113
; %bb.115:                              ;   in Loop: Header=BB10_114 Depth=1
	v_lshrrev_b32_e32 v11, s6, v2
	s_min_u32 s8, s5, 8
	s_delay_alu instid0(VALU_DEP_1) | instid1(SALU_CYCLE_1)
	v_bfe_u32 v11, v11, 0, s8
	s_delay_alu instid0(VALU_DEP_1)
	v_lshl_add_u32 v11, v11, 4, v10
	ds_add_u32 v11, v9
	s_branch .LBB10_113
.LBB10_116:
	v_xor_b32_e32 v2, 0x7fffffff, v8
	v_dual_mov_b32 v8, 1 :: v_dual_mov_b32 v9, v1
	s_mov_b32 s4, s24
	s_mov_b32 s5, s28
	s_branch .LBB10_118
	.p2align	6
.LBB10_117:                             ;   in Loop: Header=BB10_118 Depth=1
	s_or_b32 exec_lo, exec_lo, s6
	v_add_nc_u32_e32 v9, 0x1000, v9
	s_add_i32 s5, s5, 8
	s_add_i32 s4, s4, -8
	s_cmp_lt_u32 s5, s29
	s_cbranch_scc0 .LBB10_120
.LBB10_118:                             ; =>This Inner Loop Header: Depth=1
	s_and_saveexec_b32 s6, s3
	s_cbranch_execz .LBB10_117
; %bb.119:                              ;   in Loop: Header=BB10_118 Depth=1
	v_lshrrev_b32_e32 v10, s5, v2
	s_min_u32 s7, s4, 8
	s_delay_alu instid0(VALU_DEP_1) | instid1(SALU_CYCLE_1)
	v_bfe_u32 v10, v10, 0, s7
	s_delay_alu instid0(VALU_DEP_1)
	v_lshl_add_u32 v10, v10, 4, v9
	ds_add_u32 v10, v8
	s_branch .LBB10_117
.LBB10_120:
	v_xor_b32_e32 v2, 0x7fffffff, v7
	v_dual_mov_b32 v7, 1 :: v_dual_mov_b32 v8, v1
	s_mov_b32 s3, s24
	s_mov_b32 s4, s28
	s_branch .LBB10_122
	.p2align	6
.LBB10_121:                             ;   in Loop: Header=BB10_122 Depth=1
	s_or_b32 exec_lo, exec_lo, s5
	v_add_nc_u32_e32 v8, 0x1000, v8
	s_add_i32 s4, s4, 8
	s_add_i32 s3, s3, -8
	s_cmp_lt_u32 s4, s29
	s_cbranch_scc0 .LBB10_124
.LBB10_122:                             ; =>This Inner Loop Header: Depth=1
	s_and_saveexec_b32 s5, s2
	s_cbranch_execz .LBB10_121
; %bb.123:                              ;   in Loop: Header=BB10_122 Depth=1
	v_lshrrev_b32_e32 v9, s4, v2
	s_min_u32 s6, s3, 8
	s_delay_alu instid0(VALU_DEP_1) | instid1(SALU_CYCLE_1)
	v_bfe_u32 v9, v9, 0, s6
	s_delay_alu instid0(VALU_DEP_1)
	v_lshl_add_u32 v9, v9, 4, v8
	ds_add_u32 v9, v7
	s_branch .LBB10_121
.LBB10_124:
	v_xor_b32_e32 v2, 0x7fffffff, v6
	v_dual_mov_b32 v6, 1 :: v_dual_mov_b32 v7, v1
	s_mov_b32 s2, s24
	s_mov_b32 s3, s28
	s_branch .LBB10_126
	.p2align	6
.LBB10_125:                             ;   in Loop: Header=BB10_126 Depth=1
	s_or_b32 exec_lo, exec_lo, s4
	v_add_nc_u32_e32 v7, 0x1000, v7
	s_add_i32 s3, s3, 8
	s_add_i32 s2, s2, -8
	s_cmp_lt_u32 s3, s29
	s_cbranch_scc0 .LBB10_128
.LBB10_126:                             ; =>This Inner Loop Header: Depth=1
	s_and_saveexec_b32 s4, s1
	s_cbranch_execz .LBB10_125
; %bb.127:                              ;   in Loop: Header=BB10_126 Depth=1
	v_lshrrev_b32_e32 v8, s3, v2
	s_min_u32 s5, s2, 8
	s_delay_alu instid0(VALU_DEP_1) | instid1(SALU_CYCLE_1)
	v_bfe_u32 v8, v8, 0, s5
	s_delay_alu instid0(VALU_DEP_1)
	v_lshl_add_u32 v8, v8, 4, v7
	ds_add_u32 v8, v6
	s_branch .LBB10_125
.LBB10_128:
	v_mov_b32_e32 v2, 1
	v_mov_b32_e32 v6, v1
	s_mov_b32 s1, s24
	s_mov_b32 s2, s28
	s_branch .LBB10_130
	.p2align	6
.LBB10_129:                             ;   in Loop: Header=BB10_130 Depth=1
	s_or_b32 exec_lo, exec_lo, s3
	v_add_nc_u32_e32 v6, 0x1000, v6
	s_add_i32 s2, s2, 8
	s_add_i32 s1, s1, -8
	s_cmp_lt_u32 s2, s29
	s_cbranch_scc0 .LBB10_132
.LBB10_130:                             ; =>This Inner Loop Header: Depth=1
	s_and_saveexec_b32 s3, s0
	s_cbranch_execz .LBB10_129
; %bb.131:                              ;   in Loop: Header=BB10_130 Depth=1
	v_lshrrev_b32_e32 v7, s2, v5
	s_min_u32 s4, s1, 8
	s_delay_alu instid0(VALU_DEP_1) | instid1(SALU_CYCLE_1)
	v_bfe_u32 v7, v7, 0, s4
	s_delay_alu instid0(VALU_DEP_1)
	v_lshl_add_u32 v7, v7, 4, v6
	ds_add_u32 v7, v2
	s_branch .LBB10_129
.LBB10_132:
	v_mov_b32_e32 v2, 1
	s_mov_b32 s0, s28
	s_branch .LBB10_134
	.p2align	6
.LBB10_133:                             ;   in Loop: Header=BB10_134 Depth=1
	s_or_b32 exec_lo, exec_lo, s1
	v_add_nc_u32_e32 v1, 0x1000, v1
	s_add_i32 s0, s0, 8
	s_add_i32 s24, s24, -8
	s_cmp_lt_u32 s0, s29
	s_cbranch_scc0 .LBB10_136
.LBB10_134:                             ; =>This Inner Loop Header: Depth=1
	s_and_saveexec_b32 s1, vcc_lo
	s_cbranch_execz .LBB10_133
; %bb.135:                              ;   in Loop: Header=BB10_134 Depth=1
	v_lshrrev_b32_e32 v5, s0, v4
	s_min_u32 s2, s24, 8
	s_delay_alu instid0(VALU_DEP_1) | instid1(SALU_CYCLE_1)
	v_bfe_u32 v5, v5, 0, s2
	s_delay_alu instid0(VALU_DEP_1)
	v_lshl_add_u32 v5, v5, 4, v1
	ds_add_u32 v5, v2
	s_branch .LBB10_133
.LBB10_136:
	s_and_b32 vcc_lo, exec_lo, s21
	s_waitcnt lgkmcnt(0)
	s_barrier
	buffer_gl0_inv
	s_cbranch_vccz .LBB10_141
; %bb.137:
	v_cmp_gt_u32_e32 vcc_lo, 0x100, v0
	v_dual_mov_b32 v1, v0 :: v_dual_lshlrev_b32 v4, 4, v0
	v_mov_b32_e32 v2, 0
	s_mov_b32 s1, s28
	s_set_inst_prefetch_distance 0x1
	s_branch .LBB10_139
	.p2align	6
.LBB10_138:                             ;   in Loop: Header=BB10_139 Depth=1
	s_or_b32 exec_lo, exec_lo, s2
	v_add_nc_u32_e32 v1, 0x100, v1
	v_add_nc_u32_e32 v4, 0x1000, v4
	s_add_i32 s1, s1, 8
	s_delay_alu instid0(SALU_CYCLE_1)
	s_cmp_lt_u32 s1, s29
	s_cbranch_scc0 .LBB10_141
.LBB10_139:                             ; =>This Inner Loop Header: Depth=1
	s_and_saveexec_b32 s2, vcc_lo
	s_cbranch_execz .LBB10_138
; %bb.140:                              ;   in Loop: Header=BB10_139 Depth=1
	ds_load_2addr_b32 v[5:6], v4 offset1:1
	ds_load_2addr_b32 v[7:8], v4 offset0:2 offset1:3
	v_lshlrev_b64 v[9:10], 3, v[1:2]
	s_waitcnt lgkmcnt(1)
	v_add_nc_u32_e32 v11, v6, v5
	s_delay_alu instid0(VALU_DEP_2) | instskip(NEXT) | instid1(VALU_DEP_1)
	v_add_co_u32 v5, s0, s22, v9
	v_add_co_ci_u32_e64 v6, s0, s23, v10, s0
	s_waitcnt lgkmcnt(0)
	s_delay_alu instid0(VALU_DEP_3)
	v_add3_u32 v7, v11, v7, v8
	v_mov_b32_e32 v8, v2
	global_atomic_add_u64 v[5:6], v[7:8], off
	s_branch .LBB10_138
.LBB10_141:
	s_set_inst_prefetch_distance 0x2
	s_mov_b32 s0, 0
.LBB10_142:
	s_delay_alu instid0(SALU_CYCLE_1)
	s_and_b32 vcc_lo, exec_lo, s0
	s_cbranch_vccz .LBB10_202
; %bb.143:
	v_add_co_u32 v33, s0, s30, v3
	s_delay_alu instid0(VALU_DEP_1)
	v_add_co_ci_u32_e64 v34, null, s31, 0, s0
	global_load_b32 v4, v3, s[30:31] offset:2048
	v_add_co_u32 v1, vcc_lo, 0x1000, v33
	v_add_co_ci_u32_e32 v2, vcc_lo, 0, v34, vcc_lo
	v_add_co_u32 v25, vcc_lo, v33, 0x2000
	v_add_co_ci_u32_e32 v26, vcc_lo, 0, v34, vcc_lo
	v_add_co_u32 v10, vcc_lo, 0x2000, v33
	v_add_co_ci_u32_e32 v11, vcc_lo, 0, v34, vcc_lo
	v_add_co_u32 v12, vcc_lo, 0x3000, v33
	v_add_co_ci_u32_e32 v13, vcc_lo, 0, v34, vcc_lo
	v_add_co_u32 v5, vcc_lo, v33, 0x4000
	v_add_co_ci_u32_e32 v6, vcc_lo, 0, v34, vcc_lo
	v_add_co_u32 v14, vcc_lo, 0x4000, v33
	v_add_co_ci_u32_e32 v15, vcc_lo, 0, v34, vcc_lo
	v_add_co_u32 v16, vcc_lo, 0x5000, v33
	v_add_co_ci_u32_e32 v17, vcc_lo, 0, v34, vcc_lo
	v_add_co_u32 v18, vcc_lo, v33, 0x6000
	v_add_co_ci_u32_e32 v19, vcc_lo, 0, v34, vcc_lo
	v_add_co_u32 v23, vcc_lo, 0x6000, v33
	v_add_co_ci_u32_e32 v24, vcc_lo, 0, v34, vcc_lo
	v_add_co_u32 v27, vcc_lo, 0x7000, v33
	v_add_co_ci_u32_e32 v28, vcc_lo, 0, v34, vcc_lo
	v_add_co_u32 v29, vcc_lo, v33, 0x8000
	v_add_co_ci_u32_e32 v30, vcc_lo, 0, v34, vcc_lo
	v_add_co_u32 v31, vcc_lo, 0x8000, v33
	v_add_co_ci_u32_e32 v32, vcc_lo, 0, v34, vcc_lo
	s_clause 0xc
	global_load_b32 v9, v[25:26], off
	global_load_b32 v8, v[5:6], off offset:-4096
	global_load_b32 v6, v[5:6], off
	global_load_b32 v5, v[18:19], off offset:-4096
	global_load_b32 v7, v[18:19], off
	global_load_b32 v22, v[1:2], off offset:2048
	global_load_b32 v20, v[10:11], off offset:2048
	;; [unrolled: 1-line block ×8, first 2 shown]
	v_add_co_u32 v1, vcc_lo, v33, 0xa000
	v_add_co_ci_u32_e32 v2, vcc_lo, 0, v34, vcc_lo
	v_add_co_u32 v12, vcc_lo, 0x9000, v33
	v_add_co_ci_u32_e32 v13, vcc_lo, 0, v34, vcc_lo
	;; [unrolled: 2-line block ×3, first 2 shown]
	s_clause 0x7
	global_load_b32 v23, v[29:30], off offset:-4096
	global_load_b32 v21, v[29:30], off
	global_load_b32 v11, v[1:2], off offset:-4096
	global_load_b32 v13, v[12:13], off offset:2048
	global_load_b32 v24, v3, s[30:31]
	global_load_b32 v12, v[1:2], off
	global_load_b32 v25, v[25:26], off offset:-4096
	global_load_b32 v14, v[27:28], off offset:2048
	s_cmp_lg_u32 s28, 0
	v_or_b32_e32 v26, 0xc00, v0
	s_cselect_b32 s0, -1, 0
	s_cmp_lg_u32 s29, 32
	s_cselect_b32 s1, -1, 0
	s_delay_alu instid0(SALU_CYCLE_1) | instskip(NEXT) | instid1(SALU_CYCLE_1)
	s_or_b32 s0, s0, s1
	s_and_b32 vcc_lo, exec_lo, s0
	s_mov_b32 s0, -1
	s_cbranch_vccz .LBB10_197
; %bb.144:
	v_mov_b32_e32 v1, 0
	s_mov_b32 s0, exec_lo
	ds_store_2addr_stride64_b32 v3, v1, v1 offset1:8
	ds_store_2addr_stride64_b32 v3, v1, v1 offset0:16 offset1:24
	ds_store_2addr_stride64_b32 v3, v1, v1 offset0:32 offset1:40
	ds_store_b32 v3, v1 offset:12288
	v_cmpx_gt_u32_e32 0xe00, v26
	s_cbranch_execz .LBB10_146
; %bb.145:
	ds_store_b32 v3, v1 offset:14336
.LBB10_146:
	s_or_b32 exec_lo, exec_lo, s0
	s_cmp_gt_u32 s29, s28
	s_waitcnt vmcnt(0) lgkmcnt(0)
	s_waitcnt_vscnt null, 0x0
	s_cselect_b32 s0, -1, 0
	s_cmp_le_u32 s29, s28
	s_barrier
	buffer_gl0_inv
	s_cbranch_scc1 .LBB10_191
; %bb.147:
	v_and_b32_e32 v1, 3, v0
	v_xor_b32_e32 v2, 0x7fffffff, v24
	s_sub_i32 s1, s29, s28
	s_mov_b32 s3, s28
	s_mov_b32 s2, s1
	v_lshlrev_b32_e32 v1, 2, v1
	s_delay_alu instid0(VALU_DEP_1)
	v_dual_mov_b32 v27, 1 :: v_dual_mov_b32 v28, v1
.LBB10_148:                             ; =>This Inner Loop Header: Depth=1
	v_lshrrev_b32_e32 v29, s3, v2
	s_min_u32 s4, s2, 8
	s_add_i32 s3, s3, 8
	s_add_i32 s2, s2, -8
	s_cmp_lt_u32 s3, s29
	v_bfe_u32 v29, v29, 0, s4
	s_delay_alu instid0(VALU_DEP_1)
	v_lshl_add_u32 v29, v29, 4, v28
	v_add_nc_u32_e32 v28, 0x1000, v28
	ds_add_u32 v29, v27
	s_cbranch_scc1 .LBB10_148
; %bb.149:
	v_xor_b32_e32 v2, 0x7fffffff, v4
	v_dual_mov_b32 v27, 1 :: v_dual_mov_b32 v28, v1
	s_mov_b32 s2, s1
	s_mov_b32 s3, s28
.LBB10_150:                             ; =>This Inner Loop Header: Depth=1
	s_delay_alu instid0(VALU_DEP_2) | instid1(SALU_CYCLE_1)
	v_lshrrev_b32_e32 v29, s3, v2
	s_min_u32 s4, s2, 8
	s_add_i32 s3, s3, 8
	s_add_i32 s2, s2, -8
	s_cmp_lt_u32 s3, s29
	v_bfe_u32 v29, v29, 0, s4
	s_delay_alu instid0(VALU_DEP_1)
	v_lshl_add_u32 v29, v29, 4, v28
	v_add_nc_u32_e32 v28, 0x1000, v28
	ds_add_u32 v29, v27
	s_cbranch_scc1 .LBB10_150
; %bb.151:
	v_xor_b32_e32 v2, 0x7fffffff, v25
	v_dual_mov_b32 v27, 1 :: v_dual_mov_b32 v28, v1
	s_mov_b32 s2, s1
	s_mov_b32 s3, s28
.LBB10_152:                             ; =>This Inner Loop Header: Depth=1
	s_delay_alu instid0(VALU_DEP_2) | instid1(SALU_CYCLE_1)
	v_lshrrev_b32_e32 v29, s3, v2
	s_min_u32 s4, s2, 8
	s_add_i32 s3, s3, 8
	s_add_i32 s2, s2, -8
	s_cmp_lt_u32 s3, s29
	v_bfe_u32 v29, v29, 0, s4
	s_delay_alu instid0(VALU_DEP_1)
	v_lshl_add_u32 v29, v29, 4, v28
	v_add_nc_u32_e32 v28, 0x1000, v28
	ds_add_u32 v29, v27
	s_cbranch_scc1 .LBB10_152
	;; [unrolled: 18-line block ×20, first 2 shown]
; %bb.189:
	v_xor_b32_e32 v2, 0x7fffffff, v14
	v_mov_b32_e32 v27, 1
	s_mov_b32 s2, s28
.LBB10_190:                             ; =>This Inner Loop Header: Depth=1
	s_delay_alu instid0(VALU_DEP_2) | instid1(SALU_CYCLE_1)
	v_lshrrev_b32_e32 v28, s2, v2
	s_min_u32 s3, s1, 8
	s_add_i32 s2, s2, 8
	s_add_i32 s1, s1, -8
	s_cmp_lt_u32 s2, s29
	v_bfe_u32 v28, v28, 0, s3
	s_delay_alu instid0(VALU_DEP_1)
	v_lshl_add_u32 v28, v28, 4, v1
	v_add_nc_u32_e32 v1, 0x1000, v1
	ds_add_u32 v28, v27
	s_cbranch_scc1 .LBB10_190
.LBB10_191:
	s_and_b32 vcc_lo, exec_lo, s0
	s_waitcnt lgkmcnt(0)
	s_barrier
	buffer_gl0_inv
	s_cbranch_vccz .LBB10_196
; %bb.192:
	v_cmp_gt_u32_e32 vcc_lo, 0x100, v0
	v_dual_mov_b32 v2, 0 :: v_dual_lshlrev_b32 v27, 4, v0
	v_mov_b32_e32 v1, v0
	s_set_inst_prefetch_distance 0x1
	s_branch .LBB10_194
	.p2align	6
.LBB10_193:                             ;   in Loop: Header=BB10_194 Depth=1
	s_or_b32 exec_lo, exec_lo, s1
	v_add_nc_u32_e32 v1, 0x100, v1
	v_add_nc_u32_e32 v27, 0x1000, v27
	s_add_i32 s28, s28, 8
	s_delay_alu instid0(SALU_CYCLE_1)
	s_cmp_ge_u32 s28, s29
	s_cbranch_scc1 .LBB10_196
.LBB10_194:                             ; =>This Inner Loop Header: Depth=1
	s_and_saveexec_b32 s1, vcc_lo
	s_cbranch_execz .LBB10_193
; %bb.195:                              ;   in Loop: Header=BB10_194 Depth=1
	ds_load_2addr_b32 v[28:29], v27 offset1:1
	ds_load_2addr_b32 v[30:31], v27 offset0:2 offset1:3
	v_lshlrev_b64 v[32:33], 3, v[1:2]
	s_waitcnt lgkmcnt(1)
	v_add_nc_u32_e32 v34, v29, v28
	s_delay_alu instid0(VALU_DEP_2) | instskip(NEXT) | instid1(VALU_DEP_1)
	v_add_co_u32 v28, s0, s22, v32
	v_add_co_ci_u32_e64 v29, s0, s23, v33, s0
	s_waitcnt lgkmcnt(0)
	s_delay_alu instid0(VALU_DEP_3)
	v_add3_u32 v30, v34, v30, v31
	v_mov_b32_e32 v31, v2
	global_atomic_add_u64 v[28:29], v[30:31], off
	s_branch .LBB10_193
.LBB10_196:
	s_set_inst_prefetch_distance 0x2
	s_mov_b32 s0, 0
.LBB10_197:
	s_delay_alu instid0(SALU_CYCLE_1)
	s_and_b32 vcc_lo, exec_lo, s0
	s_cbranch_vccz .LBB10_202
; %bb.198:
	v_mov_b32_e32 v1, 0
	s_mov_b32 s0, exec_lo
	ds_store_2addr_stride64_b32 v3, v1, v1 offset1:8
	ds_store_2addr_stride64_b32 v3, v1, v1 offset0:16 offset1:24
	ds_store_2addr_stride64_b32 v3, v1, v1 offset0:32 offset1:40
	ds_store_b32 v3, v1 offset:12288
	v_cmpx_gt_u32_e32 0xe00, v26
	s_cbranch_execz .LBB10_200
; %bb.199:
	ds_store_b32 v3, v1 offset:14336
.LBB10_200:
	s_or_b32 exec_lo, exec_lo, s0
	s_waitcnt vmcnt(3)
	v_xor_b32_e32 v24, 0x7fffffff, v24
	v_and_b32_e32 v1, 3, v0
	v_xor_b32_e32 v26, 0x7fffffff, v4
	s_waitcnt vmcnt(0) lgkmcnt(0)
	s_waitcnt_vscnt null, 0x0
	s_barrier
	v_lshlrev_b32_e32 v2, 2, v24
	v_lshrrev_b32_e32 v3, 6, v24
	v_lshrrev_b32_e32 v4, 14, v24
	buffer_gl0_inv
	v_xor_b32_e32 v25, 0x7fffffff, v25
	v_and_or_b32 v2, 0x3fc, v2, v1
	v_xor_b32_e32 v22, 0x7fffffff, v22
	v_xor_b32_e32 v9, 0x7fffffff, v9
	;; [unrolled: 1-line block ×4, first 2 shown]
	v_dual_mov_b32 v2, 1 :: v_dual_lshlrev_b32 v27, 2, v2
	v_and_or_b32 v3, 0x3fc, v3, v1
	v_and_or_b32 v4, 0x3fc, v4, v1
	v_xor_b32_e32 v19, 0x7fffffff, v19
	v_xor_b32_e32 v6, 0x7fffffff, v6
	;; [unrolled: 1-line block ×3, first 2 shown]
	v_lshlrev_b32_e32 v28, 2, v3
	v_lshlrev_b32_e32 v29, 2, v4
	v_xor_b32_e32 v4, 0x7fffffff, v12
	v_lshrrev_b32_e32 v12, 22, v24
	v_xor_b32_e32 v3, 0x7fffffff, v14
	v_lshlrev_b32_e32 v14, 2, v26
	v_lshrrev_b32_e32 v24, 6, v26
	ds_add_u32 v27, v2
	ds_add_u32 v28, v2 offset:4096
	ds_add_u32 v29, v2 offset:8192
	v_lshrrev_b32_e32 v27, 14, v26
	v_lshrrev_b32_e32 v26, 22, v26
	v_and_or_b32 v12, 0x3fc, v12, v1
	v_and_or_b32 v14, 0x3fc, v14, v1
	;; [unrolled: 1-line block ×5, first 2 shown]
	v_lshlrev_b32_e32 v12, 2, v12
	v_lshlrev_b32_e32 v14, 2, v14
	;; [unrolled: 1-line block ×5, first 2 shown]
	ds_add_u32 v12, v2 offset:12288
	ds_add_u32 v14, v2
	ds_add_u32 v24, v2 offset:4096
	ds_add_u32 v27, v2 offset:8192
	;; [unrolled: 1-line block ×3, first 2 shown]
	v_lshlrev_b32_e32 v12, 2, v25
	v_lshrrev_b32_e32 v14, 6, v25
	v_lshrrev_b32_e32 v24, 14, v25
	;; [unrolled: 1-line block ×3, first 2 shown]
	v_lshlrev_b32_e32 v26, 2, v22
	v_and_or_b32 v12, 0x3fc, v12, v1
	v_and_or_b32 v14, 0x3fc, v14, v1
	;; [unrolled: 1-line block ×5, first 2 shown]
	v_lshlrev_b32_e32 v12, 2, v12
	v_lshlrev_b32_e32 v14, 2, v14
	;; [unrolled: 1-line block ×5, first 2 shown]
	ds_add_u32 v12, v2
	ds_add_u32 v14, v2 offset:4096
	ds_add_u32 v24, v2 offset:8192
	;; [unrolled: 1-line block ×3, first 2 shown]
	ds_add_u32 v26, v2
	v_lshrrev_b32_e32 v12, 6, v22
	v_lshrrev_b32_e32 v14, 14, v22
	;; [unrolled: 1-line block ×3, first 2 shown]
	v_lshlrev_b32_e32 v24, 2, v9
	v_lshrrev_b32_e32 v25, 6, v9
	v_and_or_b32 v12, 0x3fc, v12, v1
	v_and_or_b32 v14, 0x3fc, v14, v1
	;; [unrolled: 1-line block ×5, first 2 shown]
	v_lshlrev_b32_e32 v12, 2, v12
	v_lshlrev_b32_e32 v14, 2, v14
	;; [unrolled: 1-line block ×5, first 2 shown]
	ds_add_u32 v12, v2 offset:4096
	ds_add_u32 v14, v2 offset:8192
	;; [unrolled: 1-line block ×3, first 2 shown]
	ds_add_u32 v24, v2
	ds_add_u32 v25, v2 offset:4096
	v_lshrrev_b32_e32 v12, 14, v9
	v_lshrrev_b32_e32 v9, 22, v9
	v_lshlrev_b32_e32 v14, 2, v20
	v_lshrrev_b32_e32 v22, 6, v20
	v_lshrrev_b32_e32 v24, 14, v20
	v_and_or_b32 v12, 0x3fc, v12, v1
	v_and_or_b32 v9, 0x3fc, v9, v1
	;; [unrolled: 1-line block ×5, first 2 shown]
	v_lshlrev_b32_e32 v12, 2, v12
	v_lshlrev_b32_e32 v9, 2, v9
	;; [unrolled: 1-line block ×5, first 2 shown]
	ds_add_u32 v12, v2 offset:8192
	ds_add_u32 v9, v2 offset:12288
	ds_add_u32 v14, v2
	ds_add_u32 v22, v2 offset:4096
	ds_add_u32 v24, v2 offset:8192
	v_lshrrev_b32_e32 v9, 22, v20
	v_lshlrev_b32_e32 v12, 2, v8
	v_lshrrev_b32_e32 v14, 6, v8
	v_lshrrev_b32_e32 v20, 14, v8
	;; [unrolled: 1-line block ×3, first 2 shown]
	v_and_or_b32 v9, 0x3fc, v9, v1
	v_and_or_b32 v12, 0x3fc, v12, v1
	;; [unrolled: 1-line block ×5, first 2 shown]
	v_lshlrev_b32_e32 v9, 2, v9
	v_lshlrev_b32_e32 v12, 2, v12
	;; [unrolled: 1-line block ×5, first 2 shown]
	ds_add_u32 v9, v2 offset:12288
	ds_add_u32 v12, v2
	ds_add_u32 v14, v2 offset:4096
	ds_add_u32 v20, v2 offset:8192
	;; [unrolled: 1-line block ×3, first 2 shown]
	v_lshlrev_b32_e32 v8, 2, v19
	v_lshrrev_b32_e32 v9, 6, v19
	v_lshrrev_b32_e32 v12, 14, v19
	;; [unrolled: 1-line block ×3, first 2 shown]
	v_lshlrev_b32_e32 v19, 2, v6
	v_and_or_b32 v8, 0x3fc, v8, v1
	v_and_or_b32 v9, 0x3fc, v9, v1
	;; [unrolled: 1-line block ×5, first 2 shown]
	v_lshlrev_b32_e32 v8, 2, v8
	v_lshlrev_b32_e32 v9, 2, v9
	;; [unrolled: 1-line block ×5, first 2 shown]
	ds_add_u32 v8, v2
	ds_add_u32 v9, v2 offset:4096
	ds_add_u32 v12, v2 offset:8192
	;; [unrolled: 1-line block ×3, first 2 shown]
	ds_add_u32 v19, v2
	v_lshrrev_b32_e32 v8, 6, v6
	v_lshrrev_b32_e32 v9, 14, v6
	;; [unrolled: 1-line block ×3, first 2 shown]
	v_lshlrev_b32_e32 v12, 2, v18
	v_lshrrev_b32_e32 v14, 6, v18
	v_and_or_b32 v8, 0x3fc, v8, v1
	v_and_or_b32 v9, 0x3fc, v9, v1
	;; [unrolled: 1-line block ×5, first 2 shown]
	v_lshlrev_b32_e32 v8, 2, v8
	v_lshlrev_b32_e32 v9, 2, v9
	v_xor_b32_e32 v5, 0x7fffffff, v5
	v_lshlrev_b32_e32 v6, 2, v6
	v_lshlrev_b32_e32 v12, 2, v12
	v_lshlrev_b32_e32 v14, 2, v14
	ds_add_u32 v8, v2 offset:4096
	ds_add_u32 v9, v2 offset:8192
	;; [unrolled: 1-line block ×3, first 2 shown]
	ds_add_u32 v12, v2
	ds_add_u32 v14, v2 offset:4096
	v_lshrrev_b32_e32 v6, 14, v18
	v_lshrrev_b32_e32 v8, 22, v18
	v_lshlrev_b32_e32 v9, 2, v5
	v_lshrrev_b32_e32 v12, 6, v5
	v_lshrrev_b32_e32 v14, 14, v5
	v_and_or_b32 v6, 0x3fc, v6, v1
	v_and_or_b32 v8, 0x3fc, v8, v1
	;; [unrolled: 1-line block ×5, first 2 shown]
	v_xor_b32_e32 v17, 0x7fffffff, v17
	v_lshlrev_b32_e32 v6, 2, v6
	v_lshlrev_b32_e32 v8, 2, v8
	v_lshlrev_b32_e32 v9, 2, v9
	v_lshlrev_b32_e32 v12, 2, v12
	v_lshlrev_b32_e32 v14, 2, v14
	v_lshrrev_b32_e32 v5, 22, v5
	ds_add_u32 v6, v2 offset:8192
	ds_add_u32 v8, v2 offset:12288
	ds_add_u32 v9, v2
	ds_add_u32 v12, v2 offset:4096
	ds_add_u32 v14, v2 offset:8192
	v_lshlrev_b32_e32 v6, 2, v17
	v_lshrrev_b32_e32 v8, 6, v17
	v_lshrrev_b32_e32 v9, 14, v17
	;; [unrolled: 1-line block ×3, first 2 shown]
	v_and_or_b32 v5, 0x3fc, v5, v1
	v_and_or_b32 v6, 0x3fc, v6, v1
	;; [unrolled: 1-line block ×5, first 2 shown]
	v_xor_b32_e32 v7, 0x7fffffff, v7
	v_lshlrev_b32_e32 v5, 2, v5
	v_lshlrev_b32_e32 v6, 2, v6
	;; [unrolled: 1-line block ×4, first 2 shown]
	v_xor_b32_e32 v16, 0x7fffffff, v16
	v_lshlrev_b32_e32 v12, 2, v12
	ds_add_u32 v5, v2 offset:12288
	ds_add_u32 v6, v2
	ds_add_u32 v8, v2 offset:4096
	ds_add_u32 v9, v2 offset:8192
	;; [unrolled: 1-line block ×3, first 2 shown]
	v_lshlrev_b32_e32 v5, 2, v7
	v_lshrrev_b32_e32 v6, 6, v7
	v_lshrrev_b32_e32 v8, 14, v7
	v_lshrrev_b32_e32 v7, 22, v7
	v_lshlrev_b32_e32 v9, 2, v16
	v_and_or_b32 v5, 0x3fc, v5, v1
	v_and_or_b32 v6, 0x3fc, v6, v1
	;; [unrolled: 1-line block ×5, first 2 shown]
	v_lshlrev_b32_e32 v5, 2, v5
	v_lshlrev_b32_e32 v6, 2, v6
	;; [unrolled: 1-line block ×3, first 2 shown]
	v_xor_b32_e32 v23, 0x7fffffff, v23
	v_lshlrev_b32_e32 v7, 2, v7
	v_lshlrev_b32_e32 v9, 2, v9
	ds_add_u32 v5, v2
	ds_add_u32 v6, v2 offset:4096
	ds_add_u32 v8, v2 offset:8192
	;; [unrolled: 1-line block ×3, first 2 shown]
	ds_add_u32 v9, v2
	v_lshrrev_b32_e32 v5, 6, v16
	v_lshrrev_b32_e32 v6, 14, v16
	;; [unrolled: 1-line block ×3, first 2 shown]
	v_lshlrev_b32_e32 v8, 2, v23
	v_lshrrev_b32_e32 v9, 6, v23
	v_and_or_b32 v5, 0x3fc, v5, v1
	v_and_or_b32 v6, 0x3fc, v6, v1
	;; [unrolled: 1-line block ×5, first 2 shown]
	v_lshlrev_b32_e32 v5, 2, v5
	v_lshlrev_b32_e32 v6, 2, v6
	v_xor_b32_e32 v15, 0x7fffffff, v15
	v_lshlrev_b32_e32 v7, 2, v7
	v_lshlrev_b32_e32 v8, 2, v8
	;; [unrolled: 1-line block ×3, first 2 shown]
	ds_add_u32 v5, v2 offset:4096
	ds_add_u32 v6, v2 offset:8192
	;; [unrolled: 1-line block ×3, first 2 shown]
	ds_add_u32 v8, v2
	ds_add_u32 v9, v2 offset:4096
	v_lshrrev_b32_e32 v5, 14, v23
	v_lshrrev_b32_e32 v6, 22, v23
	v_lshlrev_b32_e32 v7, 2, v15
	v_lshrrev_b32_e32 v8, 6, v15
	v_lshrrev_b32_e32 v9, 14, v15
	v_and_or_b32 v5, 0x3fc, v5, v1
	v_and_or_b32 v6, 0x3fc, v6, v1
	;; [unrolled: 1-line block ×5, first 2 shown]
	v_lshlrev_b32_e32 v5, 2, v5
	v_xor_b32_e32 v21, 0x7fffffff, v21
	v_lshlrev_b32_e32 v6, 2, v6
	v_lshlrev_b32_e32 v7, 2, v7
	;; [unrolled: 1-line block ×4, first 2 shown]
	ds_add_u32 v5, v2 offset:8192
	ds_add_u32 v6, v2 offset:12288
	ds_add_u32 v7, v2
	ds_add_u32 v8, v2 offset:4096
	ds_add_u32 v9, v2 offset:8192
	v_lshrrev_b32_e32 v5, 22, v15
	v_lshlrev_b32_e32 v6, 2, v21
	v_lshrrev_b32_e32 v7, 6, v21
	v_lshrrev_b32_e32 v8, 14, v21
	;; [unrolled: 1-line block ×3, first 2 shown]
	v_and_or_b32 v5, 0x3fc, v5, v1
	v_and_or_b32 v6, 0x3fc, v6, v1
	;; [unrolled: 1-line block ×5, first 2 shown]
	v_xor_b32_e32 v10, 0x7fffffff, v10
	v_lshlrev_b32_e32 v5, 2, v5
	v_lshlrev_b32_e32 v6, 2, v6
	;; [unrolled: 1-line block ×4, first 2 shown]
	v_xor_b32_e32 v11, 0x7fffffff, v11
	v_lshlrev_b32_e32 v9, 2, v9
	ds_add_u32 v5, v2 offset:12288
	ds_add_u32 v6, v2
	ds_add_u32 v7, v2 offset:4096
	ds_add_u32 v8, v2 offset:8192
	;; [unrolled: 1-line block ×3, first 2 shown]
	v_lshlrev_b32_e32 v5, 2, v10
	v_lshrrev_b32_e32 v6, 6, v10
	v_lshrrev_b32_e32 v7, 14, v10
	;; [unrolled: 1-line block ×3, first 2 shown]
	v_lshlrev_b32_e32 v9, 2, v11
	v_and_or_b32 v5, 0x3fc, v5, v1
	v_and_or_b32 v6, 0x3fc, v6, v1
	;; [unrolled: 1-line block ×5, first 2 shown]
	v_lshlrev_b32_e32 v5, 2, v5
	v_lshlrev_b32_e32 v6, 2, v6
	;; [unrolled: 1-line block ×3, first 2 shown]
	v_xor_b32_e32 v13, 0x7fffffff, v13
	v_lshlrev_b32_e32 v8, 2, v8
	v_lshlrev_b32_e32 v9, 2, v9
	ds_add_u32 v5, v2
	ds_add_u32 v6, v2 offset:4096
	ds_add_u32 v7, v2 offset:8192
	;; [unrolled: 1-line block ×3, first 2 shown]
	ds_add_u32 v9, v2
	v_lshrrev_b32_e32 v5, 6, v11
	v_lshrrev_b32_e32 v6, 14, v11
	;; [unrolled: 1-line block ×3, first 2 shown]
	v_lshlrev_b32_e32 v8, 2, v13
	v_lshrrev_b32_e32 v9, 6, v13
	v_and_or_b32 v5, 0x3fc, v5, v1
	v_and_or_b32 v6, 0x3fc, v6, v1
	;; [unrolled: 1-line block ×5, first 2 shown]
	v_lshlrev_b32_e32 v5, 2, v5
	v_lshlrev_b32_e32 v6, 2, v6
	;; [unrolled: 1-line block ×5, first 2 shown]
	ds_add_u32 v5, v2 offset:4096
	ds_add_u32 v6, v2 offset:8192
	;; [unrolled: 1-line block ×3, first 2 shown]
	ds_add_u32 v8, v2
	ds_add_u32 v9, v2 offset:4096
	v_lshrrev_b32_e32 v5, 14, v13
	v_lshrrev_b32_e32 v6, 22, v13
	v_lshlrev_b32_e32 v7, 2, v4
	v_lshrrev_b32_e32 v8, 6, v4
	v_lshrrev_b32_e32 v9, 14, v4
	v_and_or_b32 v5, 0x3fc, v5, v1
	v_and_or_b32 v6, 0x3fc, v6, v1
	;; [unrolled: 1-line block ×5, first 2 shown]
	v_lshlrev_b32_e32 v5, 2, v5
	v_lshlrev_b32_e32 v6, 2, v6
	;; [unrolled: 1-line block ×5, first 2 shown]
	v_lshrrev_b32_e32 v4, 22, v4
	ds_add_u32 v5, v2 offset:8192
	ds_add_u32 v6, v2 offset:12288
	ds_add_u32 v7, v2
	ds_add_u32 v8, v2 offset:4096
	ds_add_u32 v9, v2 offset:8192
	v_lshlrev_b32_e32 v5, 2, v3
	v_lshrrev_b32_e32 v6, 6, v3
	v_lshrrev_b32_e32 v7, 14, v3
	v_lshrrev_b32_e32 v3, 22, v3
	v_and_or_b32 v4, 0x3fc, v4, v1
	v_and_or_b32 v5, 0x3fc, v5, v1
	;; [unrolled: 1-line block ×5, first 2 shown]
	v_lshlrev_b32_e32 v3, 2, v4
	v_lshlrev_b32_e32 v4, 2, v5
	;; [unrolled: 1-line block ×5, first 2 shown]
	ds_add_u32 v3, v2 offset:12288
	ds_add_u32 v4, v2
	ds_add_u32 v5, v2 offset:4096
	ds_add_u32 v6, v2 offset:8192
	;; [unrolled: 1-line block ×3, first 2 shown]
	s_waitcnt lgkmcnt(0)
	s_barrier
	buffer_gl0_inv
	s_mov_b32 s0, exec_lo
	v_cmpx_gt_u32_e32 0x100, v0
	s_cbranch_execz .LBB10_202
; %bb.201:
	v_lshlrev_b32_e32 v6, 4, v0
	v_lshlrev_b32_e32 v7, 3, v0
	ds_load_2addr_b32 v[1:2], v6 offset1:1
	ds_load_2addr_b32 v[3:4], v6 offset0:2 offset1:3
	s_waitcnt lgkmcnt(1)
	v_dual_mov_b32 v1, 0 :: v_dual_add_nc_u32 v2, v2, v1
	s_waitcnt lgkmcnt(0)
	s_delay_alu instid0(VALU_DEP_1)
	v_add3_u32 v0, v2, v3, v4
	v_add_nc_u32_e32 v2, 0x1000, v6
	v_add_nc_u32_e32 v4, 0x1008, v6
	global_atomic_add_u64 v7, v[0:1], s[22:23]
	ds_load_2addr_b32 v[2:3], v2 offset1:1
	ds_load_2addr_b32 v[4:5], v4 offset1:1
	s_waitcnt lgkmcnt(1)
	v_add_nc_u32_e32 v0, v3, v2
	v_or_b32_e32 v2, 0x2000, v6
	s_waitcnt lgkmcnt(0)
	s_delay_alu instid0(VALU_DEP_2)
	v_add3_u32 v0, v0, v4, v5
	v_or_b32_e32 v4, 0x2008, v6
	global_atomic_add_u64 v7, v[0:1], s[22:23] offset:2048
	ds_load_2addr_b32 v[2:3], v2 offset1:1
	ds_load_2addr_b32 v[4:5], v4 offset1:1
	s_waitcnt lgkmcnt(1)
	v_add_nc_u32_e32 v0, v3, v2
	v_or_b32_e32 v2, 0x1000, v7
	v_add_nc_u32_e32 v3, 0x3000, v6
	s_waitcnt lgkmcnt(0)
	s_delay_alu instid0(VALU_DEP_3)
	v_add3_u32 v0, v0, v4, v5
	v_add_nc_u32_e32 v4, 0x3008, v6
	global_atomic_add_u64 v2, v[0:1], s[22:23]
	ds_load_2addr_b32 v[2:3], v3 offset1:1
	ds_load_2addr_b32 v[4:5], v4 offset1:1
	s_waitcnt lgkmcnt(1)
	v_add_nc_u32_e32 v0, v3, v2
	v_or_b32_e32 v2, 0x1800, v7
	s_waitcnt lgkmcnt(0)
	s_delay_alu instid0(VALU_DEP_2)
	v_add3_u32 v0, v0, v4, v5
	global_atomic_add_u64 v2, v[0:1], s[22:23]
.LBB10_202:
	s_nop 0
	s_sendmsg sendmsg(MSG_DEALLOC_VGPRS)
	s_endpgm
	.section	.rodata,"a",@progbits
	.p2align	6, 0x0
	.amdhsa_kernel _ZN7rocprim17ROCPRIM_304000_NS6detail26onesweep_histograms_kernelINS1_34wrapped_radix_sort_onesweep_configINS0_14default_configEiN2at4cuda3cub6detail10OpaqueTypeILi1EEEEELb1EPKimNS0_19identity_decomposerEEEvT1_PT2_SG_SG_T3_jj
		.amdhsa_group_segment_fixed_size 16384
		.amdhsa_private_segment_fixed_size 0
		.amdhsa_kernarg_size 44
		.amdhsa_user_sgpr_count 15
		.amdhsa_user_sgpr_dispatch_ptr 0
		.amdhsa_user_sgpr_queue_ptr 0
		.amdhsa_user_sgpr_kernarg_segment_ptr 1
		.amdhsa_user_sgpr_dispatch_id 0
		.amdhsa_user_sgpr_private_segment_size 0
		.amdhsa_wavefront_size32 1
		.amdhsa_uses_dynamic_stack 0
		.amdhsa_enable_private_segment 0
		.amdhsa_system_sgpr_workgroup_id_x 1
		.amdhsa_system_sgpr_workgroup_id_y 0
		.amdhsa_system_sgpr_workgroup_id_z 0
		.amdhsa_system_sgpr_workgroup_info 0
		.amdhsa_system_vgpr_workitem_id 0
		.amdhsa_next_free_vgpr 35
		.amdhsa_next_free_sgpr 34
		.amdhsa_reserve_vcc 1
		.amdhsa_float_round_mode_32 0
		.amdhsa_float_round_mode_16_64 0
		.amdhsa_float_denorm_mode_32 3
		.amdhsa_float_denorm_mode_16_64 3
		.amdhsa_dx10_clamp 1
		.amdhsa_ieee_mode 1
		.amdhsa_fp16_overflow 0
		.amdhsa_workgroup_processor_mode 1
		.amdhsa_memory_ordered 1
		.amdhsa_forward_progress 0
		.amdhsa_shared_vgpr_count 0
		.amdhsa_exception_fp_ieee_invalid_op 0
		.amdhsa_exception_fp_denorm_src 0
		.amdhsa_exception_fp_ieee_div_zero 0
		.amdhsa_exception_fp_ieee_overflow 0
		.amdhsa_exception_fp_ieee_underflow 0
		.amdhsa_exception_fp_ieee_inexact 0
		.amdhsa_exception_int_div_zero 0
	.end_amdhsa_kernel
	.section	.text._ZN7rocprim17ROCPRIM_304000_NS6detail26onesweep_histograms_kernelINS1_34wrapped_radix_sort_onesweep_configINS0_14default_configEiN2at4cuda3cub6detail10OpaqueTypeILi1EEEEELb1EPKimNS0_19identity_decomposerEEEvT1_PT2_SG_SG_T3_jj,"axG",@progbits,_ZN7rocprim17ROCPRIM_304000_NS6detail26onesweep_histograms_kernelINS1_34wrapped_radix_sort_onesweep_configINS0_14default_configEiN2at4cuda3cub6detail10OpaqueTypeILi1EEEEELb1EPKimNS0_19identity_decomposerEEEvT1_PT2_SG_SG_T3_jj,comdat
.Lfunc_end10:
	.size	_ZN7rocprim17ROCPRIM_304000_NS6detail26onesweep_histograms_kernelINS1_34wrapped_radix_sort_onesweep_configINS0_14default_configEiN2at4cuda3cub6detail10OpaqueTypeILi1EEEEELb1EPKimNS0_19identity_decomposerEEEvT1_PT2_SG_SG_T3_jj, .Lfunc_end10-_ZN7rocprim17ROCPRIM_304000_NS6detail26onesweep_histograms_kernelINS1_34wrapped_radix_sort_onesweep_configINS0_14default_configEiN2at4cuda3cub6detail10OpaqueTypeILi1EEEEELb1EPKimNS0_19identity_decomposerEEEvT1_PT2_SG_SG_T3_jj
                                        ; -- End function
	.section	.AMDGPU.csdata,"",@progbits
; Kernel info:
; codeLenInByte = 9776
; NumSgprs: 36
; NumVgprs: 35
; ScratchSize: 0
; MemoryBound: 0
; FloatMode: 240
; IeeeMode: 1
; LDSByteSize: 16384 bytes/workgroup (compile time only)
; SGPRBlocks: 4
; VGPRBlocks: 4
; NumSGPRsForWavesPerEU: 36
; NumVGPRsForWavesPerEU: 35
; Occupancy: 16
; WaveLimiterHint : 1
; COMPUTE_PGM_RSRC2:SCRATCH_EN: 0
; COMPUTE_PGM_RSRC2:USER_SGPR: 15
; COMPUTE_PGM_RSRC2:TRAP_HANDLER: 0
; COMPUTE_PGM_RSRC2:TGID_X_EN: 1
; COMPUTE_PGM_RSRC2:TGID_Y_EN: 0
; COMPUTE_PGM_RSRC2:TGID_Z_EN: 0
; COMPUTE_PGM_RSRC2:TIDIG_COMP_CNT: 0
	.section	.text._ZN7rocprim17ROCPRIM_304000_NS6detail31onesweep_scan_histograms_kernelINS1_34wrapped_radix_sort_onesweep_configINS0_14default_configEiN2at4cuda3cub6detail10OpaqueTypeILi1EEEEEmEEvPT0_,"axG",@progbits,_ZN7rocprim17ROCPRIM_304000_NS6detail31onesweep_scan_histograms_kernelINS1_34wrapped_radix_sort_onesweep_configINS0_14default_configEiN2at4cuda3cub6detail10OpaqueTypeILi1EEEEEmEEvPT0_,comdat
	.protected	_ZN7rocprim17ROCPRIM_304000_NS6detail31onesweep_scan_histograms_kernelINS1_34wrapped_radix_sort_onesweep_configINS0_14default_configEiN2at4cuda3cub6detail10OpaqueTypeILi1EEEEEmEEvPT0_ ; -- Begin function _ZN7rocprim17ROCPRIM_304000_NS6detail31onesweep_scan_histograms_kernelINS1_34wrapped_radix_sort_onesweep_configINS0_14default_configEiN2at4cuda3cub6detail10OpaqueTypeILi1EEEEEmEEvPT0_
	.globl	_ZN7rocprim17ROCPRIM_304000_NS6detail31onesweep_scan_histograms_kernelINS1_34wrapped_radix_sort_onesweep_configINS0_14default_configEiN2at4cuda3cub6detail10OpaqueTypeILi1EEEEEmEEvPT0_
	.p2align	8
	.type	_ZN7rocprim17ROCPRIM_304000_NS6detail31onesweep_scan_histograms_kernelINS1_34wrapped_radix_sort_onesweep_configINS0_14default_configEiN2at4cuda3cub6detail10OpaqueTypeILi1EEEEEmEEvPT0_,@function
_ZN7rocprim17ROCPRIM_304000_NS6detail31onesweep_scan_histograms_kernelINS1_34wrapped_radix_sort_onesweep_configINS0_14default_configEiN2at4cuda3cub6detail10OpaqueTypeILi1EEEEEmEEvPT0_: ; @_ZN7rocprim17ROCPRIM_304000_NS6detail31onesweep_scan_histograms_kernelINS1_34wrapped_radix_sort_onesweep_configINS0_14default_configEiN2at4cuda3cub6detail10OpaqueTypeILi1EEEEEmEEvPT0_
; %bb.0:
	s_load_b64 s[0:1], s[0:1], 0x0
	s_lshl_b32 s2, s15, 8
	s_mov_b32 s3, 0
	v_cmp_gt_u32_e32 vcc_lo, 0x100, v0
	s_lshl_b64 s[2:3], s[2:3], 3
	v_lshlrev_b32_e32 v5, 3, v0
                                        ; implicit-def: $vgpr1_vgpr2
	s_waitcnt lgkmcnt(0)
	s_add_u32 s6, s0, s2
	s_addc_u32 s7, s1, s3
	s_and_saveexec_b32 s0, vcc_lo
	s_cbranch_execz .LBB11_2
; %bb.1:
	global_load_b64 v[1:2], v5, s[6:7]
.LBB11_2:
	s_or_b32 exec_lo, exec_lo, s0
	v_mbcnt_lo_u32_b32 v6, -1, 0
	s_waitcnt vmcnt(0)
	v_mov_b32_dpp v8, v1 row_shr:1 row_mask:0xf bank_mask:0xf
	v_mov_b32_dpp v7, v2 row_shr:1 row_mask:0xf bank_mask:0xf
	s_delay_alu instid0(VALU_DEP_3) | instskip(NEXT) | instid1(VALU_DEP_1)
	v_dual_mov_b32 v3, v1 :: v_dual_and_b32 v4, 15, v6
	v_cmp_ne_u32_e64 s0, 0, v4
	s_delay_alu instid0(VALU_DEP_1)
	s_and_saveexec_b32 s2, s0
; %bb.3:
	v_add_co_u32 v3, s1, v1, v8
	s_delay_alu instid0(VALU_DEP_1) | instskip(NEXT) | instid1(VALU_DEP_2)
	v_add_co_ci_u32_e64 v2, s1, 0, v2, s1
	v_add_co_u32 v1, s1, 0, v3
	s_delay_alu instid0(VALU_DEP_1)
	v_add_co_ci_u32_e64 v2, s1, v7, v2, s1
; %bb.4:
	s_or_b32 exec_lo, exec_lo, s2
	v_mov_b32_dpp v8, v3 row_shr:2 row_mask:0xf bank_mask:0xf
	s_delay_alu instid0(VALU_DEP_2) | instskip(SKIP_1) | instid1(VALU_DEP_1)
	v_mov_b32_dpp v7, v2 row_shr:2 row_mask:0xf bank_mask:0xf
	v_cmp_lt_u32_e64 s1, 1, v4
	s_and_saveexec_b32 s3, s1
; %bb.5:
	s_delay_alu instid0(VALU_DEP_3) | instskip(NEXT) | instid1(VALU_DEP_1)
	v_add_co_u32 v3, s2, v1, v8
	v_add_co_ci_u32_e64 v2, s2, 0, v2, s2
	s_delay_alu instid0(VALU_DEP_2) | instskip(NEXT) | instid1(VALU_DEP_1)
	v_add_co_u32 v1, s2, 0, v3
	v_add_co_ci_u32_e64 v2, s2, v7, v2, s2
; %bb.6:
	s_or_b32 exec_lo, exec_lo, s3
	v_mov_b32_dpp v8, v3 row_shr:4 row_mask:0xf bank_mask:0xf
	s_delay_alu instid0(VALU_DEP_2) | instskip(SKIP_1) | instid1(VALU_DEP_1)
	v_mov_b32_dpp v7, v2 row_shr:4 row_mask:0xf bank_mask:0xf
	v_cmp_lt_u32_e64 s2, 3, v4
	s_and_saveexec_b32 s4, s2
; %bb.7:
	s_delay_alu instid0(VALU_DEP_3) | instskip(NEXT) | instid1(VALU_DEP_1)
	v_add_co_u32 v3, s3, v1, v8
	v_add_co_ci_u32_e64 v2, s3, 0, v2, s3
	s_delay_alu instid0(VALU_DEP_2) | instskip(NEXT) | instid1(VALU_DEP_1)
	v_add_co_u32 v1, s3, 0, v3
	;; [unrolled: 14-line block ×3, first 2 shown]
	v_add_co_ci_u32_e64 v2, s4, v7, v2, s4
; %bb.10:
	s_or_b32 exec_lo, exec_lo, s5
	ds_swizzle_b32 v4, v3 offset:swizzle(BROADCAST,32,15)
	ds_swizzle_b32 v3, v2 offset:swizzle(BROADCAST,32,15)
	v_and_b32_e32 v7, 16, v6
	s_mov_b32 s5, exec_lo
	s_delay_alu instid0(VALU_DEP_1)
	v_cmpx_ne_u32_e32 0, v7
	s_cbranch_execz .LBB11_12
; %bb.11:
	s_waitcnt lgkmcnt(1)
	v_add_co_u32 v1, s4, v1, v4
	s_delay_alu instid0(VALU_DEP_1) | instskip(NEXT) | instid1(VALU_DEP_2)
	v_add_co_ci_u32_e64 v2, s4, 0, v2, s4
	v_add_co_u32 v1, s4, v1, 0
	s_waitcnt lgkmcnt(0)
	s_delay_alu instid0(VALU_DEP_2)
	v_add_co_ci_u32_e64 v2, s4, v2, v3, s4
.LBB11_12:
	s_or_b32 exec_lo, exec_lo, s5
	s_waitcnt lgkmcnt(0)
	v_or_b32_e32 v3, 31, v0
	v_lshrrev_b32_e32 v7, 5, v0
	s_mov_b32 s5, exec_lo
	s_delay_alu instid0(VALU_DEP_2)
	v_cmpx_eq_u32_e64 v3, v0
	s_cbranch_execz .LBB11_14
; %bb.13:
	s_delay_alu instid0(VALU_DEP_2)
	v_lshlrev_b32_e32 v3, 3, v7
	ds_store_b64 v3, v[1:2]
.LBB11_14:
	s_or_b32 exec_lo, exec_lo, s5
	s_delay_alu instid0(SALU_CYCLE_1)
	s_mov_b32 s5, exec_lo
	s_waitcnt lgkmcnt(0)
	s_barrier
	buffer_gl0_inv
	v_cmpx_gt_u32_e32 16, v0
	s_cbranch_execz .LBB11_24
; %bb.15:
	ds_load_b64 v[3:4], v5
	s_waitcnt lgkmcnt(0)
	v_mov_b32_dpp v10, v3 row_shr:1 row_mask:0xf bank_mask:0xf
	v_mov_b32_dpp v9, v4 row_shr:1 row_mask:0xf bank_mask:0xf
	v_mov_b32_e32 v8, v3
	s_and_saveexec_b32 s4, s0
; %bb.16:
	s_delay_alu instid0(VALU_DEP_3) | instskip(NEXT) | instid1(VALU_DEP_1)
	v_add_co_u32 v8, s0, v3, v10
	v_add_co_ci_u32_e64 v4, s0, 0, v4, s0
	s_delay_alu instid0(VALU_DEP_2) | instskip(NEXT) | instid1(VALU_DEP_1)
	v_add_co_u32 v3, s0, 0, v8
	v_add_co_ci_u32_e64 v4, s0, v9, v4, s0
; %bb.17:
	s_or_b32 exec_lo, exec_lo, s4
	v_mov_b32_dpp v10, v8 row_shr:2 row_mask:0xf bank_mask:0xf
	s_delay_alu instid0(VALU_DEP_2)
	v_mov_b32_dpp v9, v4 row_shr:2 row_mask:0xf bank_mask:0xf
	s_and_saveexec_b32 s4, s1
; %bb.18:
	s_delay_alu instid0(VALU_DEP_2) | instskip(NEXT) | instid1(VALU_DEP_1)
	v_add_co_u32 v8, s0, v3, v10
	v_add_co_ci_u32_e64 v4, s0, 0, v4, s0
	s_delay_alu instid0(VALU_DEP_2) | instskip(NEXT) | instid1(VALU_DEP_1)
	v_add_co_u32 v3, s0, 0, v8
	v_add_co_ci_u32_e64 v4, s0, v9, v4, s0
; %bb.19:
	s_or_b32 exec_lo, exec_lo, s4
	v_mov_b32_dpp v10, v8 row_shr:4 row_mask:0xf bank_mask:0xf
	s_delay_alu instid0(VALU_DEP_2)
	v_mov_b32_dpp v9, v4 row_shr:4 row_mask:0xf bank_mask:0xf
	s_and_saveexec_b32 s1, s2
; %bb.20:
	s_delay_alu instid0(VALU_DEP_2) | instskip(NEXT) | instid1(VALU_DEP_1)
	;; [unrolled: 13-line block ×3, first 2 shown]
	v_add_co_u32 v3, s0, v3, v9
	v_add_co_ci_u32_e64 v4, s0, 0, v4, s0
	s_delay_alu instid0(VALU_DEP_2) | instskip(NEXT) | instid1(VALU_DEP_1)
	v_add_co_u32 v3, s0, v3, 0
	v_add_co_ci_u32_e64 v4, s0, v4, v8, s0
; %bb.23:
	s_or_b32 exec_lo, exec_lo, s1
	ds_store_b64 v5, v[3:4]
.LBB11_24:
	s_or_b32 exec_lo, exec_lo, s5
	v_mov_b32_e32 v3, 0
	v_mov_b32_e32 v4, 0
	s_mov_b32 s1, exec_lo
	s_waitcnt lgkmcnt(0)
	s_barrier
	buffer_gl0_inv
	v_cmpx_lt_u32_e32 31, v0
	s_cbranch_execz .LBB11_26
; %bb.25:
	v_lshl_add_u32 v0, v7, 3, -8
	ds_load_b64 v[3:4], v0
.LBB11_26:
	s_or_b32 exec_lo, exec_lo, s1
	v_add_nc_u32_e32 v0, -1, v6
	s_delay_alu instid0(VALU_DEP_1) | instskip(NEXT) | instid1(VALU_DEP_1)
	v_cmp_gt_i32_e64 s0, 0, v0
	v_cndmask_b32_e64 v0, v0, v6, s0
	s_delay_alu instid0(VALU_DEP_1) | instskip(SKIP_2) | instid1(VALU_DEP_1)
	v_lshlrev_b32_e32 v7, 2, v0
	s_waitcnt lgkmcnt(0)
	v_add_co_u32 v0, s0, v3, v1
	v_add_co_ci_u32_e64 v1, s0, v4, v2, s0
	ds_bpermute_b32 v0, v7, v0
	ds_bpermute_b32 v1, v7, v1
	s_and_saveexec_b32 s0, vcc_lo
	s_cbranch_execz .LBB11_28
; %bb.27:
	v_cmp_eq_u32_e32 vcc_lo, 0, v6
	s_waitcnt lgkmcnt(0)
	v_dual_cndmask_b32 v1, v1, v4 :: v_dual_cndmask_b32 v0, v0, v3
	global_store_b64 v5, v[0:1], s[6:7]
.LBB11_28:
	s_nop 0
	s_sendmsg sendmsg(MSG_DEALLOC_VGPRS)
	s_endpgm
	.section	.rodata,"a",@progbits
	.p2align	6, 0x0
	.amdhsa_kernel _ZN7rocprim17ROCPRIM_304000_NS6detail31onesweep_scan_histograms_kernelINS1_34wrapped_radix_sort_onesweep_configINS0_14default_configEiN2at4cuda3cub6detail10OpaqueTypeILi1EEEEEmEEvPT0_
		.amdhsa_group_segment_fixed_size 128
		.amdhsa_private_segment_fixed_size 0
		.amdhsa_kernarg_size 8
		.amdhsa_user_sgpr_count 15
		.amdhsa_user_sgpr_dispatch_ptr 0
		.amdhsa_user_sgpr_queue_ptr 0
		.amdhsa_user_sgpr_kernarg_segment_ptr 1
		.amdhsa_user_sgpr_dispatch_id 0
		.amdhsa_user_sgpr_private_segment_size 0
		.amdhsa_wavefront_size32 1
		.amdhsa_uses_dynamic_stack 0
		.amdhsa_enable_private_segment 0
		.amdhsa_system_sgpr_workgroup_id_x 1
		.amdhsa_system_sgpr_workgroup_id_y 0
		.amdhsa_system_sgpr_workgroup_id_z 0
		.amdhsa_system_sgpr_workgroup_info 0
		.amdhsa_system_vgpr_workitem_id 0
		.amdhsa_next_free_vgpr 11
		.amdhsa_next_free_sgpr 16
		.amdhsa_reserve_vcc 1
		.amdhsa_float_round_mode_32 0
		.amdhsa_float_round_mode_16_64 0
		.amdhsa_float_denorm_mode_32 3
		.amdhsa_float_denorm_mode_16_64 3
		.amdhsa_dx10_clamp 1
		.amdhsa_ieee_mode 1
		.amdhsa_fp16_overflow 0
		.amdhsa_workgroup_processor_mode 1
		.amdhsa_memory_ordered 1
		.amdhsa_forward_progress 0
		.amdhsa_shared_vgpr_count 0
		.amdhsa_exception_fp_ieee_invalid_op 0
		.amdhsa_exception_fp_denorm_src 0
		.amdhsa_exception_fp_ieee_div_zero 0
		.amdhsa_exception_fp_ieee_overflow 0
		.amdhsa_exception_fp_ieee_underflow 0
		.amdhsa_exception_fp_ieee_inexact 0
		.amdhsa_exception_int_div_zero 0
	.end_amdhsa_kernel
	.section	.text._ZN7rocprim17ROCPRIM_304000_NS6detail31onesweep_scan_histograms_kernelINS1_34wrapped_radix_sort_onesweep_configINS0_14default_configEiN2at4cuda3cub6detail10OpaqueTypeILi1EEEEEmEEvPT0_,"axG",@progbits,_ZN7rocprim17ROCPRIM_304000_NS6detail31onesweep_scan_histograms_kernelINS1_34wrapped_radix_sort_onesweep_configINS0_14default_configEiN2at4cuda3cub6detail10OpaqueTypeILi1EEEEEmEEvPT0_,comdat
.Lfunc_end11:
	.size	_ZN7rocprim17ROCPRIM_304000_NS6detail31onesweep_scan_histograms_kernelINS1_34wrapped_radix_sort_onesweep_configINS0_14default_configEiN2at4cuda3cub6detail10OpaqueTypeILi1EEEEEmEEvPT0_, .Lfunc_end11-_ZN7rocprim17ROCPRIM_304000_NS6detail31onesweep_scan_histograms_kernelINS1_34wrapped_radix_sort_onesweep_configINS0_14default_configEiN2at4cuda3cub6detail10OpaqueTypeILi1EEEEEmEEvPT0_
                                        ; -- End function
	.section	.AMDGPU.csdata,"",@progbits
; Kernel info:
; codeLenInByte = 1028
; NumSgprs: 18
; NumVgprs: 11
; ScratchSize: 0
; MemoryBound: 0
; FloatMode: 240
; IeeeMode: 1
; LDSByteSize: 128 bytes/workgroup (compile time only)
; SGPRBlocks: 2
; VGPRBlocks: 1
; NumSGPRsForWavesPerEU: 18
; NumVGPRsForWavesPerEU: 11
; Occupancy: 16
; WaveLimiterHint : 0
; COMPUTE_PGM_RSRC2:SCRATCH_EN: 0
; COMPUTE_PGM_RSRC2:USER_SGPR: 15
; COMPUTE_PGM_RSRC2:TRAP_HANDLER: 0
; COMPUTE_PGM_RSRC2:TGID_X_EN: 1
; COMPUTE_PGM_RSRC2:TGID_Y_EN: 0
; COMPUTE_PGM_RSRC2:TGID_Z_EN: 0
; COMPUTE_PGM_RSRC2:TIDIG_COMP_CNT: 0
	.section	.text._ZN7rocprim17ROCPRIM_304000_NS6detail16transform_kernelINS1_24wrapped_transform_configINS0_14default_configEiEEiPKiPiNS0_8identityIiEEEEvT1_mT2_T3_,"axG",@progbits,_ZN7rocprim17ROCPRIM_304000_NS6detail16transform_kernelINS1_24wrapped_transform_configINS0_14default_configEiEEiPKiPiNS0_8identityIiEEEEvT1_mT2_T3_,comdat
	.protected	_ZN7rocprim17ROCPRIM_304000_NS6detail16transform_kernelINS1_24wrapped_transform_configINS0_14default_configEiEEiPKiPiNS0_8identityIiEEEEvT1_mT2_T3_ ; -- Begin function _ZN7rocprim17ROCPRIM_304000_NS6detail16transform_kernelINS1_24wrapped_transform_configINS0_14default_configEiEEiPKiPiNS0_8identityIiEEEEvT1_mT2_T3_
	.globl	_ZN7rocprim17ROCPRIM_304000_NS6detail16transform_kernelINS1_24wrapped_transform_configINS0_14default_configEiEEiPKiPiNS0_8identityIiEEEEvT1_mT2_T3_
	.p2align	8
	.type	_ZN7rocprim17ROCPRIM_304000_NS6detail16transform_kernelINS1_24wrapped_transform_configINS0_14default_configEiEEiPKiPiNS0_8identityIiEEEEvT1_mT2_T3_,@function
_ZN7rocprim17ROCPRIM_304000_NS6detail16transform_kernelINS1_24wrapped_transform_configINS0_14default_configEiEEiPKiPiNS0_8identityIiEEEEvT1_mT2_T3_: ; @_ZN7rocprim17ROCPRIM_304000_NS6detail16transform_kernelINS1_24wrapped_transform_configINS0_14default_configEiEEiPKiPiNS0_8identityIiEEEEvT1_mT2_T3_
; %bb.0:
	s_clause 0x2
	s_load_b32 s2, s[0:1], 0x20
	s_load_b128 s[4:7], s[0:1], 0x0
	s_load_b64 s[16:17], s[0:1], 0x10
	s_mov_b32 s21, 0
	s_lshl_b32 s20, s15, 12
	v_lshlrev_b32_e32 v3, 2, v0
	s_lshl_b64 s[18:19], s[20:21], 2
	s_waitcnt lgkmcnt(0)
	s_add_i32 s2, s2, -1
	s_add_u32 s0, s4, s18
	s_addc_u32 s1, s5, s19
	v_add_co_u32 v1, s0, s0, v3
	s_delay_alu instid0(VALU_DEP_1)
	v_add_co_ci_u32_e64 v2, null, s1, 0, s0
	s_cmp_lg_u32 s15, s2
	s_mov_b32 s0, -1
	s_cbranch_scc0 .LBB12_2
; %bb.1:
	v_add_co_u32 v4, vcc_lo, 0x1000, v1
	v_add_co_ci_u32_e32 v5, vcc_lo, 0, v2, vcc_lo
	v_add_co_u32 v6, vcc_lo, v1, 0x2000
	v_add_co_ci_u32_e32 v7, vcc_lo, 0, v2, vcc_lo
	;; [unrolled: 2-line block ×3, first 2 shown]
	v_add_co_u32 v10, vcc_lo, 0x3000, v1
	global_load_b32 v13, v[6:7], off
	v_add_co_ci_u32_e32 v11, vcc_lo, 0, v2, vcc_lo
	s_clause 0xe
	global_load_b32 v14, v[1:2], off
	global_load_b32 v15, v[1:2], off offset:1024
	global_load_b32 v16, v[1:2], off offset:2048
	;; [unrolled: 1-line block ×9, first 2 shown]
	global_load_b32 v24, v[10:11], off
	global_load_b32 v25, v[10:11], off offset:1024
	global_load_b32 v26, v[6:7], off offset:-4096
	global_load_b32 v27, v[10:11], off offset:2048
	global_load_b32 v4, v[10:11], off offset:3072
	s_add_u32 s2, s16, s18
	s_addc_u32 s3, s17, s19
	v_add_co_u32 v11, s1, s2, v3
	s_delay_alu instid0(VALU_DEP_1) | instskip(NEXT) | instid1(VALU_DEP_2)
	v_add_co_ci_u32_e64 v12, null, s3, 0, s1
	v_add_co_u32 v5, vcc_lo, 0x1000, v11
	s_delay_alu instid0(VALU_DEP_2)
	v_add_co_ci_u32_e32 v6, vcc_lo, 0, v12, vcc_lo
	v_add_co_u32 v7, vcc_lo, v11, 0x2000
	v_add_co_ci_u32_e32 v8, vcc_lo, 0, v12, vcc_lo
	v_add_co_u32 v9, vcc_lo, 0x2000, v11
	;; [unrolled: 2-line block ×3, first 2 shown]
	s_mov_b32 s21, -1
	v_add_co_ci_u32_e32 v12, vcc_lo, 0, v12, vcc_lo
	s_waitcnt vmcnt(15)
	global_store_b32 v[7:8], v13, off
	s_waitcnt vmcnt(14)
	global_store_b32 v3, v14, s[2:3]
	s_waitcnt vmcnt(13)
	global_store_b32 v3, v15, s[2:3] offset:1024
	s_waitcnt vmcnt(12)
	global_store_b32 v3, v16, s[2:3] offset:2048
	;; [unrolled: 2-line block ×3, first 2 shown]
	s_waitcnt vmcnt(10)
	global_store_b32 v[5:6], v18, off offset:1024
	s_waitcnt vmcnt(9)
	global_store_b32 v[5:6], v19, off offset:2048
	;; [unrolled: 2-line block ×6, first 2 shown]
	s_waitcnt vmcnt(4)
	global_store_b32 v[11:12], v24, off
	s_waitcnt vmcnt(3)
	global_store_b32 v[11:12], v25, off offset:1024
	s_waitcnt vmcnt(2)
	global_store_b32 v[7:8], v26, off offset:-4096
	s_waitcnt vmcnt(1)
	global_store_b32 v[11:12], v27, off offset:2048
	s_cbranch_execz .LBB12_3
	s_branch .LBB12_52
.LBB12_2:
                                        ; implicit-def: $vgpr4
	s_and_not1_b32 vcc_lo, exec_lo, s0
	s_cbranch_vccnz .LBB12_52
.LBB12_3:
	s_sub_i32 s15, s6, s20
                                        ; implicit-def: $vgpr5
	s_delay_alu instid0(SALU_CYCLE_1)
	v_cmp_gt_u32_e32 vcc_lo, s15, v0
	s_and_saveexec_b32 s0, vcc_lo
	s_cbranch_execz .LBB12_5
; %bb.4:
	global_load_b32 v5, v[1:2], off
.LBB12_5:
	s_or_b32 exec_lo, exec_lo, s0
	s_waitcnt vmcnt(0)
	v_or_b32_e32 v4, 0x100, v0
                                        ; implicit-def: $vgpr6
	s_delay_alu instid0(VALU_DEP_1) | instskip(NEXT) | instid1(VALU_DEP_1)
	v_cmp_gt_u32_e64 s0, s15, v4
	s_and_saveexec_b32 s1, s0
	s_cbranch_execz .LBB12_7
; %bb.6:
	global_load_b32 v6, v[1:2], off offset:1024
.LBB12_7:
	s_or_b32 exec_lo, exec_lo, s1
	v_or_b32_e32 v4, 0x200, v0
                                        ; implicit-def: $vgpr7
	s_delay_alu instid0(VALU_DEP_1) | instskip(NEXT) | instid1(VALU_DEP_1)
	v_cmp_gt_u32_e64 s1, s15, v4
	s_and_saveexec_b32 s2, s1
	s_cbranch_execz .LBB12_9
; %bb.8:
	global_load_b32 v7, v[1:2], off offset:2048
.LBB12_9:
	s_or_b32 exec_lo, exec_lo, s2
	v_or_b32_e32 v4, 0x300, v0
                                        ; implicit-def: $vgpr8
	s_delay_alu instid0(VALU_DEP_1) | instskip(NEXT) | instid1(VALU_DEP_1)
	v_cmp_gt_u32_e64 s2, s15, v4
	s_and_saveexec_b32 s3, s2
	s_cbranch_execz .LBB12_11
; %bb.10:
	global_load_b32 v8, v[1:2], off offset:3072
.LBB12_11:
	s_or_b32 exec_lo, exec_lo, s3
	v_or_b32_e32 v4, 0x400, v0
                                        ; implicit-def: $vgpr9
	s_delay_alu instid0(VALU_DEP_1) | instskip(NEXT) | instid1(VALU_DEP_1)
	v_cmp_gt_u32_e64 s3, s15, v4
	s_and_saveexec_b32 s5, s3
	s_cbranch_execz .LBB12_13
; %bb.12:
	v_add_co_u32 v9, s4, 0x1000, v1
	s_delay_alu instid0(VALU_DEP_1)
	v_add_co_ci_u32_e64 v10, s4, 0, v2, s4
	global_load_b32 v9, v[9:10], off
.LBB12_13:
	s_or_b32 exec_lo, exec_lo, s5
	v_or_b32_e32 v4, 0x500, v0
                                        ; implicit-def: $vgpr10
	s_delay_alu instid0(VALU_DEP_1) | instskip(NEXT) | instid1(VALU_DEP_1)
	v_cmp_gt_u32_e64 s4, s15, v4
	s_and_saveexec_b32 s6, s4
	s_cbranch_execz .LBB12_15
; %bb.14:
	v_add_co_u32 v10, s5, 0x1000, v1
	s_delay_alu instid0(VALU_DEP_1)
	v_add_co_ci_u32_e64 v11, s5, 0, v2, s5
	global_load_b32 v10, v[10:11], off offset:1024
.LBB12_15:
	s_or_b32 exec_lo, exec_lo, s6
	v_or_b32_e32 v4, 0x600, v0
                                        ; implicit-def: $vgpr11
	s_delay_alu instid0(VALU_DEP_1) | instskip(NEXT) | instid1(VALU_DEP_1)
	v_cmp_gt_u32_e64 s5, s15, v4
	s_and_saveexec_b32 s7, s5
	s_cbranch_execz .LBB12_17
; %bb.16:
	v_add_co_u32 v11, s6, 0x1000, v1
	s_delay_alu instid0(VALU_DEP_1)
	v_add_co_ci_u32_e64 v12, s6, 0, v2, s6
	global_load_b32 v11, v[11:12], off offset:2048
.LBB12_17:
	s_or_b32 exec_lo, exec_lo, s7
	v_or_b32_e32 v4, 0x700, v0
                                        ; implicit-def: $vgpr12
	s_delay_alu instid0(VALU_DEP_1) | instskip(NEXT) | instid1(VALU_DEP_1)
	v_cmp_gt_u32_e64 s6, s15, v4
	s_and_saveexec_b32 s8, s6
	s_cbranch_execz .LBB12_19
; %bb.18:
	v_add_co_u32 v12, s7, 0x1000, v1
	s_delay_alu instid0(VALU_DEP_1)
	v_add_co_ci_u32_e64 v13, s7, 0, v2, s7
	global_load_b32 v12, v[12:13], off offset:3072
.LBB12_19:
	s_or_b32 exec_lo, exec_lo, s8
	v_or_b32_e32 v4, 0x800, v0
                                        ; implicit-def: $vgpr13
	s_delay_alu instid0(VALU_DEP_1) | instskip(NEXT) | instid1(VALU_DEP_1)
	v_cmp_gt_u32_e64 s7, s15, v4
	s_and_saveexec_b32 s9, s7
	s_cbranch_execz .LBB12_21
; %bb.20:
	v_add_co_u32 v13, s8, 0x2000, v1
	s_delay_alu instid0(VALU_DEP_1)
	v_add_co_ci_u32_e64 v14, s8, 0, v2, s8
	global_load_b32 v13, v[13:14], off
.LBB12_21:
	s_or_b32 exec_lo, exec_lo, s9
	v_or_b32_e32 v4, 0x900, v0
                                        ; implicit-def: $vgpr14
	s_delay_alu instid0(VALU_DEP_1) | instskip(NEXT) | instid1(VALU_DEP_1)
	v_cmp_gt_u32_e64 s8, s15, v4
	s_and_saveexec_b32 s10, s8
	s_cbranch_execz .LBB12_23
; %bb.22:
	v_add_co_u32 v14, s9, 0x2000, v1
	s_delay_alu instid0(VALU_DEP_1)
	v_add_co_ci_u32_e64 v15, s9, 0, v2, s9
	global_load_b32 v14, v[14:15], off offset:1024
.LBB12_23:
	s_or_b32 exec_lo, exec_lo, s10
	v_or_b32_e32 v4, 0xa00, v0
                                        ; implicit-def: $vgpr15
	s_delay_alu instid0(VALU_DEP_1) | instskip(NEXT) | instid1(VALU_DEP_1)
	v_cmp_gt_u32_e64 s9, s15, v4
	s_and_saveexec_b32 s11, s9
	s_cbranch_execz .LBB12_25
; %bb.24:
	v_add_co_u32 v15, s10, 0x2000, v1
	s_delay_alu instid0(VALU_DEP_1)
	v_add_co_ci_u32_e64 v16, s10, 0, v2, s10
	global_load_b32 v15, v[15:16], off offset:2048
.LBB12_25:
	s_or_b32 exec_lo, exec_lo, s11
	v_or_b32_e32 v4, 0xb00, v0
                                        ; implicit-def: $vgpr16
	s_delay_alu instid0(VALU_DEP_1) | instskip(NEXT) | instid1(VALU_DEP_1)
	v_cmp_gt_u32_e64 s10, s15, v4
	s_and_saveexec_b32 s12, s10
	s_cbranch_execz .LBB12_27
; %bb.26:
	v_add_co_u32 v16, s11, 0x2000, v1
	s_delay_alu instid0(VALU_DEP_1)
	v_add_co_ci_u32_e64 v17, s11, 0, v2, s11
	global_load_b32 v16, v[16:17], off offset:3072
.LBB12_27:
	s_or_b32 exec_lo, exec_lo, s12
	v_or_b32_e32 v4, 0xc00, v0
                                        ; implicit-def: $vgpr17
	s_delay_alu instid0(VALU_DEP_1) | instskip(NEXT) | instid1(VALU_DEP_1)
	v_cmp_gt_u32_e64 s11, s15, v4
	s_and_saveexec_b32 s13, s11
	s_cbranch_execz .LBB12_29
; %bb.28:
	v_add_co_u32 v17, s12, 0x3000, v1
	s_delay_alu instid0(VALU_DEP_1)
	v_add_co_ci_u32_e64 v18, s12, 0, v2, s12
	global_load_b32 v17, v[17:18], off
.LBB12_29:
	s_or_b32 exec_lo, exec_lo, s13
	v_or_b32_e32 v4, 0xd00, v0
                                        ; implicit-def: $vgpr18
	s_delay_alu instid0(VALU_DEP_1) | instskip(NEXT) | instid1(VALU_DEP_1)
	v_cmp_gt_u32_e64 s12, s15, v4
	s_and_saveexec_b32 s14, s12
	s_cbranch_execz .LBB12_31
; %bb.30:
	v_add_co_u32 v18, s13, 0x3000, v1
	s_delay_alu instid0(VALU_DEP_1)
	v_add_co_ci_u32_e64 v19, s13, 0, v2, s13
	global_load_b32 v18, v[18:19], off offset:1024
.LBB12_31:
	s_or_b32 exec_lo, exec_lo, s14
	v_or_b32_e32 v4, 0xe00, v0
                                        ; implicit-def: $vgpr19
	s_delay_alu instid0(VALU_DEP_1) | instskip(NEXT) | instid1(VALU_DEP_1)
	v_cmp_gt_u32_e64 s13, s15, v4
	s_and_saveexec_b32 s20, s13
	s_cbranch_execz .LBB12_33
; %bb.32:
	v_add_co_u32 v19, s14, 0x3000, v1
	s_delay_alu instid0(VALU_DEP_1)
	v_add_co_ci_u32_e64 v20, s14, 0, v2, s14
	global_load_b32 v19, v[19:20], off offset:2048
.LBB12_33:
	s_or_b32 exec_lo, exec_lo, s20
	v_or_b32_e32 v0, 0xf00, v0
                                        ; implicit-def: $vgpr4
	s_delay_alu instid0(VALU_DEP_1) | instskip(NEXT) | instid1(VALU_DEP_1)
	v_cmp_gt_u32_e64 s21, s15, v0
	s_and_saveexec_b32 s15, s21
	s_cbranch_execz .LBB12_35
; %bb.34:
	v_add_co_u32 v0, s14, 0x3000, v1
	s_delay_alu instid0(VALU_DEP_1)
	v_add_co_ci_u32_e64 v1, s14, 0, v2, s14
	global_load_b32 v4, v[0:1], off offset:3072
.LBB12_35:
	s_or_b32 exec_lo, exec_lo, s15
	s_add_u32 s14, s16, s18
	s_addc_u32 s15, s17, s19
	v_add_co_u32 v0, s14, s14, v3
	s_delay_alu instid0(VALU_DEP_1) | instskip(SKIP_1) | instid1(SALU_CYCLE_1)
	v_add_co_ci_u32_e64 v1, null, s15, 0, s14
	s_and_saveexec_b32 s14, vcc_lo
	s_xor_b32 s14, exec_lo, s14
	s_cbranch_execnz .LBB12_55
; %bb.36:
	s_or_b32 exec_lo, exec_lo, s14
	s_and_saveexec_b32 s14, s0
	s_cbranch_execnz .LBB12_56
.LBB12_37:
	s_or_b32 exec_lo, exec_lo, s14
	s_and_saveexec_b32 s0, s1
	s_cbranch_execnz .LBB12_57
.LBB12_38:
	s_or_b32 exec_lo, exec_lo, s0
	s_and_saveexec_b32 s0, s2
	s_cbranch_execnz .LBB12_58
.LBB12_39:
	s_or_b32 exec_lo, exec_lo, s0
	s_and_saveexec_b32 s0, s3
	s_cbranch_execnz .LBB12_59
.LBB12_40:
	s_or_b32 exec_lo, exec_lo, s0
	s_and_saveexec_b32 s0, s4
	s_cbranch_execnz .LBB12_60
.LBB12_41:
	s_or_b32 exec_lo, exec_lo, s0
	s_and_saveexec_b32 s0, s5
	s_cbranch_execnz .LBB12_61
.LBB12_42:
	s_or_b32 exec_lo, exec_lo, s0
	s_and_saveexec_b32 s0, s6
	s_cbranch_execnz .LBB12_62
.LBB12_43:
	s_or_b32 exec_lo, exec_lo, s0
	s_and_saveexec_b32 s0, s7
	s_cbranch_execnz .LBB12_63
.LBB12_44:
	s_or_b32 exec_lo, exec_lo, s0
	s_and_saveexec_b32 s0, s8
	s_cbranch_execnz .LBB12_64
.LBB12_45:
	s_or_b32 exec_lo, exec_lo, s0
	s_and_saveexec_b32 s0, s9
	s_cbranch_execnz .LBB12_65
.LBB12_46:
	s_or_b32 exec_lo, exec_lo, s0
	s_and_saveexec_b32 s0, s10
	s_cbranch_execnz .LBB12_66
.LBB12_47:
	s_or_b32 exec_lo, exec_lo, s0
	s_and_saveexec_b32 s0, s11
	s_cbranch_execnz .LBB12_67
.LBB12_48:
	s_or_b32 exec_lo, exec_lo, s0
	s_and_saveexec_b32 s0, s12
	s_cbranch_execnz .LBB12_68
.LBB12_49:
	s_or_b32 exec_lo, exec_lo, s0
	s_and_saveexec_b32 s0, s13
	s_cbranch_execz .LBB12_51
.LBB12_50:
	v_add_co_u32 v0, vcc_lo, 0x3000, v0
	v_add_co_ci_u32_e32 v1, vcc_lo, 0, v1, vcc_lo
	s_waitcnt vmcnt(0)
	global_store_b32 v[0:1], v19, off offset:2048
.LBB12_51:
	s_or_b32 exec_lo, exec_lo, s0
.LBB12_52:
	s_and_saveexec_b32 s0, s21
	s_cbranch_execnz .LBB12_54
; %bb.53:
	s_nop 0
	s_sendmsg sendmsg(MSG_DEALLOC_VGPRS)
	s_endpgm
.LBB12_54:
	s_add_u32 s0, s16, s18
	s_addc_u32 s1, s17, s19
	v_add_co_u32 v0, s0, s0, v3
	s_delay_alu instid0(VALU_DEP_1) | instskip(NEXT) | instid1(VALU_DEP_2)
	v_add_co_ci_u32_e64 v1, null, s1, 0, s0
	v_add_co_u32 v0, vcc_lo, 0x3000, v0
	s_delay_alu instid0(VALU_DEP_2)
	v_add_co_ci_u32_e32 v1, vcc_lo, 0, v1, vcc_lo
	s_waitcnt vmcnt(0)
	global_store_b32 v[0:1], v4, off offset:3072
	s_nop 0
	s_sendmsg sendmsg(MSG_DEALLOC_VGPRS)
	s_endpgm
.LBB12_55:
	global_store_b32 v[0:1], v5, off
	s_or_b32 exec_lo, exec_lo, s14
	s_and_saveexec_b32 s14, s0
	s_cbranch_execz .LBB12_37
.LBB12_56:
	s_waitcnt vmcnt(0)
	global_store_b32 v[0:1], v6, off offset:1024
	s_or_b32 exec_lo, exec_lo, s14
	s_and_saveexec_b32 s0, s1
	s_cbranch_execz .LBB12_38
.LBB12_57:
	s_waitcnt vmcnt(0)
	global_store_b32 v[0:1], v7, off offset:2048
	s_or_b32 exec_lo, exec_lo, s0
	s_and_saveexec_b32 s0, s2
	s_cbranch_execz .LBB12_39
.LBB12_58:
	s_waitcnt vmcnt(0)
	global_store_b32 v[0:1], v8, off offset:3072
	s_or_b32 exec_lo, exec_lo, s0
	s_and_saveexec_b32 s0, s3
	s_cbranch_execz .LBB12_40
.LBB12_59:
	v_add_co_u32 v5, vcc_lo, 0x1000, v0
	s_waitcnt vmcnt(0)
	v_add_co_ci_u32_e32 v6, vcc_lo, 0, v1, vcc_lo
	global_store_b32 v[5:6], v9, off
	s_or_b32 exec_lo, exec_lo, s0
	s_and_saveexec_b32 s0, s4
	s_cbranch_execz .LBB12_41
.LBB12_60:
	v_add_co_u32 v5, vcc_lo, 0x1000, v0
	s_waitcnt vmcnt(0)
	v_add_co_ci_u32_e32 v6, vcc_lo, 0, v1, vcc_lo
	global_store_b32 v[5:6], v10, off offset:1024
	s_or_b32 exec_lo, exec_lo, s0
	s_and_saveexec_b32 s0, s5
	s_cbranch_execz .LBB12_42
.LBB12_61:
	v_add_co_u32 v5, vcc_lo, 0x1000, v0
	s_waitcnt vmcnt(0)
	v_add_co_ci_u32_e32 v6, vcc_lo, 0, v1, vcc_lo
	global_store_b32 v[5:6], v11, off offset:2048
	s_or_b32 exec_lo, exec_lo, s0
	s_and_saveexec_b32 s0, s6
	s_cbranch_execz .LBB12_43
.LBB12_62:
	v_add_co_u32 v5, vcc_lo, 0x1000, v0
	s_waitcnt vmcnt(0)
	v_add_co_ci_u32_e32 v6, vcc_lo, 0, v1, vcc_lo
	global_store_b32 v[5:6], v12, off offset:3072
	s_or_b32 exec_lo, exec_lo, s0
	s_and_saveexec_b32 s0, s7
	s_cbranch_execz .LBB12_44
.LBB12_63:
	v_add_co_u32 v5, vcc_lo, 0x2000, v0
	s_waitcnt vmcnt(0)
	v_add_co_ci_u32_e32 v6, vcc_lo, 0, v1, vcc_lo
	global_store_b32 v[5:6], v13, off
	s_or_b32 exec_lo, exec_lo, s0
	s_and_saveexec_b32 s0, s8
	s_cbranch_execz .LBB12_45
.LBB12_64:
	v_add_co_u32 v5, vcc_lo, 0x2000, v0
	s_waitcnt vmcnt(0)
	v_add_co_ci_u32_e32 v6, vcc_lo, 0, v1, vcc_lo
	global_store_b32 v[5:6], v14, off offset:1024
	s_or_b32 exec_lo, exec_lo, s0
	s_and_saveexec_b32 s0, s9
	s_cbranch_execz .LBB12_46
.LBB12_65:
	v_add_co_u32 v5, vcc_lo, 0x2000, v0
	s_waitcnt vmcnt(0)
	v_add_co_ci_u32_e32 v6, vcc_lo, 0, v1, vcc_lo
	global_store_b32 v[5:6], v15, off offset:2048
	s_or_b32 exec_lo, exec_lo, s0
	s_and_saveexec_b32 s0, s10
	s_cbranch_execz .LBB12_47
.LBB12_66:
	v_add_co_u32 v5, vcc_lo, 0x2000, v0
	s_waitcnt vmcnt(0)
	v_add_co_ci_u32_e32 v6, vcc_lo, 0, v1, vcc_lo
	global_store_b32 v[5:6], v16, off offset:3072
	s_or_b32 exec_lo, exec_lo, s0
	s_and_saveexec_b32 s0, s11
	s_cbranch_execz .LBB12_48
.LBB12_67:
	v_add_co_u32 v5, vcc_lo, 0x3000, v0
	s_waitcnt vmcnt(0)
	v_add_co_ci_u32_e32 v6, vcc_lo, 0, v1, vcc_lo
	global_store_b32 v[5:6], v17, off
	s_or_b32 exec_lo, exec_lo, s0
	s_and_saveexec_b32 s0, s12
	s_cbranch_execz .LBB12_49
.LBB12_68:
	v_add_co_u32 v5, vcc_lo, 0x3000, v0
	s_waitcnt vmcnt(0)
	v_add_co_ci_u32_e32 v6, vcc_lo, 0, v1, vcc_lo
	global_store_b32 v[5:6], v18, off offset:1024
	s_or_b32 exec_lo, exec_lo, s0
	s_and_saveexec_b32 s0, s13
	s_cbranch_execnz .LBB12_50
	s_branch .LBB12_51
	.section	.rodata,"a",@progbits
	.p2align	6, 0x0
	.amdhsa_kernel _ZN7rocprim17ROCPRIM_304000_NS6detail16transform_kernelINS1_24wrapped_transform_configINS0_14default_configEiEEiPKiPiNS0_8identityIiEEEEvT1_mT2_T3_
		.amdhsa_group_segment_fixed_size 0
		.amdhsa_private_segment_fixed_size 0
		.amdhsa_kernarg_size 288
		.amdhsa_user_sgpr_count 15
		.amdhsa_user_sgpr_dispatch_ptr 0
		.amdhsa_user_sgpr_queue_ptr 0
		.amdhsa_user_sgpr_kernarg_segment_ptr 1
		.amdhsa_user_sgpr_dispatch_id 0
		.amdhsa_user_sgpr_private_segment_size 0
		.amdhsa_wavefront_size32 1
		.amdhsa_uses_dynamic_stack 0
		.amdhsa_enable_private_segment 0
		.amdhsa_system_sgpr_workgroup_id_x 1
		.amdhsa_system_sgpr_workgroup_id_y 0
		.amdhsa_system_sgpr_workgroup_id_z 0
		.amdhsa_system_sgpr_workgroup_info 0
		.amdhsa_system_vgpr_workitem_id 0
		.amdhsa_next_free_vgpr 28
		.amdhsa_next_free_sgpr 22
		.amdhsa_reserve_vcc 1
		.amdhsa_float_round_mode_32 0
		.amdhsa_float_round_mode_16_64 0
		.amdhsa_float_denorm_mode_32 3
		.amdhsa_float_denorm_mode_16_64 3
		.amdhsa_dx10_clamp 1
		.amdhsa_ieee_mode 1
		.amdhsa_fp16_overflow 0
		.amdhsa_workgroup_processor_mode 1
		.amdhsa_memory_ordered 1
		.amdhsa_forward_progress 0
		.amdhsa_shared_vgpr_count 0
		.amdhsa_exception_fp_ieee_invalid_op 0
		.amdhsa_exception_fp_denorm_src 0
		.amdhsa_exception_fp_ieee_div_zero 0
		.amdhsa_exception_fp_ieee_overflow 0
		.amdhsa_exception_fp_ieee_underflow 0
		.amdhsa_exception_fp_ieee_inexact 0
		.amdhsa_exception_int_div_zero 0
	.end_amdhsa_kernel
	.section	.text._ZN7rocprim17ROCPRIM_304000_NS6detail16transform_kernelINS1_24wrapped_transform_configINS0_14default_configEiEEiPKiPiNS0_8identityIiEEEEvT1_mT2_T3_,"axG",@progbits,_ZN7rocprim17ROCPRIM_304000_NS6detail16transform_kernelINS1_24wrapped_transform_configINS0_14default_configEiEEiPKiPiNS0_8identityIiEEEEvT1_mT2_T3_,comdat
.Lfunc_end12:
	.size	_ZN7rocprim17ROCPRIM_304000_NS6detail16transform_kernelINS1_24wrapped_transform_configINS0_14default_configEiEEiPKiPiNS0_8identityIiEEEEvT1_mT2_T3_, .Lfunc_end12-_ZN7rocprim17ROCPRIM_304000_NS6detail16transform_kernelINS1_24wrapped_transform_configINS0_14default_configEiEEiPKiPiNS0_8identityIiEEEEvT1_mT2_T3_
                                        ; -- End function
	.section	.AMDGPU.csdata,"",@progbits
; Kernel info:
; codeLenInByte = 2336
; NumSgprs: 24
; NumVgprs: 28
; ScratchSize: 0
; MemoryBound: 0
; FloatMode: 240
; IeeeMode: 1
; LDSByteSize: 0 bytes/workgroup (compile time only)
; SGPRBlocks: 2
; VGPRBlocks: 3
; NumSGPRsForWavesPerEU: 24
; NumVGPRsForWavesPerEU: 28
; Occupancy: 16
; WaveLimiterHint : 1
; COMPUTE_PGM_RSRC2:SCRATCH_EN: 0
; COMPUTE_PGM_RSRC2:USER_SGPR: 15
; COMPUTE_PGM_RSRC2:TRAP_HANDLER: 0
; COMPUTE_PGM_RSRC2:TGID_X_EN: 1
; COMPUTE_PGM_RSRC2:TGID_Y_EN: 0
; COMPUTE_PGM_RSRC2:TGID_Z_EN: 0
; COMPUTE_PGM_RSRC2:TIDIG_COMP_CNT: 0
	.section	.text._ZN7rocprim17ROCPRIM_304000_NS6detail16transform_kernelINS1_24wrapped_transform_configINS0_14default_configEN2at4cuda3cub6detail10OpaqueTypeILi1EEEEESA_PKSA_PSA_NS0_8identityISA_EEEEvT1_mT2_T3_,"axG",@progbits,_ZN7rocprim17ROCPRIM_304000_NS6detail16transform_kernelINS1_24wrapped_transform_configINS0_14default_configEN2at4cuda3cub6detail10OpaqueTypeILi1EEEEESA_PKSA_PSA_NS0_8identityISA_EEEEvT1_mT2_T3_,comdat
	.protected	_ZN7rocprim17ROCPRIM_304000_NS6detail16transform_kernelINS1_24wrapped_transform_configINS0_14default_configEN2at4cuda3cub6detail10OpaqueTypeILi1EEEEESA_PKSA_PSA_NS0_8identityISA_EEEEvT1_mT2_T3_ ; -- Begin function _ZN7rocprim17ROCPRIM_304000_NS6detail16transform_kernelINS1_24wrapped_transform_configINS0_14default_configEN2at4cuda3cub6detail10OpaqueTypeILi1EEEEESA_PKSA_PSA_NS0_8identityISA_EEEEvT1_mT2_T3_
	.globl	_ZN7rocprim17ROCPRIM_304000_NS6detail16transform_kernelINS1_24wrapped_transform_configINS0_14default_configEN2at4cuda3cub6detail10OpaqueTypeILi1EEEEESA_PKSA_PSA_NS0_8identityISA_EEEEvT1_mT2_T3_
	.p2align	8
	.type	_ZN7rocprim17ROCPRIM_304000_NS6detail16transform_kernelINS1_24wrapped_transform_configINS0_14default_configEN2at4cuda3cub6detail10OpaqueTypeILi1EEEEESA_PKSA_PSA_NS0_8identityISA_EEEEvT1_mT2_T3_,@function
_ZN7rocprim17ROCPRIM_304000_NS6detail16transform_kernelINS1_24wrapped_transform_configINS0_14default_configEN2at4cuda3cub6detail10OpaqueTypeILi1EEEEESA_PKSA_PSA_NS0_8identityISA_EEEEvT1_mT2_T3_: ; @_ZN7rocprim17ROCPRIM_304000_NS6detail16transform_kernelINS1_24wrapped_transform_configINS0_14default_configEN2at4cuda3cub6detail10OpaqueTypeILi1EEEEESA_PKSA_PSA_NS0_8identityISA_EEEEvT1_mT2_T3_
; %bb.0:
	s_clause 0x2
	s_load_b32 s8, s[0:1], 0x20
	s_load_b128 s[4:7], s[0:1], 0x0
	s_load_b64 s[2:3], s[0:1], 0x10
	s_waitcnt lgkmcnt(0)
	s_lshl_b32 s7, s15, 12
	s_add_i32 s8, s8, -1
	s_add_u32 s0, s4, s7
	s_addc_u32 s1, s5, 0
	v_add_co_u32 v1, s0, s0, v0
	s_delay_alu instid0(VALU_DEP_1)
	v_add_co_ci_u32_e64 v2, null, s1, 0, s0
	s_mov_b32 s4, 0
	s_cmp_lg_u32 s15, s8
	s_mov_b32 s0, -1
	s_cbranch_scc0 .LBB13_2
; %bb.1:
	s_clause 0x3
	global_load_u8 v6, v[1:2], off
	global_load_u8 v7, v[1:2], off offset:1024
	global_load_u8 v8, v[1:2], off offset:2048
	;; [unrolled: 1-line block ×3, first 2 shown]
	s_add_u32 s0, s2, s7
	s_addc_u32 s1, s3, 0
	v_add_co_u32 v4, s0, s0, v0
	s_delay_alu instid0(VALU_DEP_1)
	v_add_co_ci_u32_e64 v5, null, s1, 0, s0
	s_mov_b32 s4, -1
	s_waitcnt vmcnt(3)
	global_store_b8 v[4:5], v6, off
	s_waitcnt vmcnt(2)
	global_store_b8 v[4:5], v7, off offset:1024
	s_waitcnt vmcnt(1)
	global_store_b8 v[4:5], v8, off offset:2048
	s_cbranch_execz .LBB13_3
	s_branch .LBB13_16
.LBB13_2:
                                        ; implicit-def: $vgpr3
	s_and_not1_b32 vcc_lo, exec_lo, s0
	s_cbranch_vccnz .LBB13_16
.LBB13_3:
	s_sub_i32 s4, s6, s7
                                        ; implicit-def: $vgpr4
	s_delay_alu instid0(SALU_CYCLE_1)
	v_cmp_gt_u32_e32 vcc_lo, s4, v0
	s_and_saveexec_b32 s0, vcc_lo
	s_cbranch_execz .LBB13_5
; %bb.4:
	global_load_u8 v4, v[1:2], off
.LBB13_5:
	s_or_b32 exec_lo, exec_lo, s0
	s_waitcnt vmcnt(0)
	v_or_b32_e32 v3, 0x400, v0
                                        ; implicit-def: $vgpr5
	s_delay_alu instid0(VALU_DEP_1) | instskip(NEXT) | instid1(VALU_DEP_1)
	v_cmp_gt_u32_e64 s0, s4, v3
	s_and_saveexec_b32 s1, s0
	s_cbranch_execz .LBB13_7
; %bb.6:
	global_load_u8 v5, v[1:2], off offset:1024
.LBB13_7:
	s_or_b32 exec_lo, exec_lo, s1
	v_or_b32_e32 v3, 0x800, v0
                                        ; implicit-def: $vgpr6
	s_delay_alu instid0(VALU_DEP_1) | instskip(NEXT) | instid1(VALU_DEP_1)
	v_cmp_gt_u32_e64 s1, s4, v3
	s_and_saveexec_b32 s5, s1
	s_cbranch_execz .LBB13_9
; %bb.8:
	global_load_u8 v6, v[1:2], off offset:2048
.LBB13_9:
	s_or_b32 exec_lo, exec_lo, s5
	v_or_b32_e32 v3, 0xc00, v0
	s_delay_alu instid0(VALU_DEP_1) | instskip(NEXT) | instid1(VALU_DEP_1)
	v_cmp_gt_u32_e64 s4, s4, v3
                                        ; implicit-def: $vgpr3
	s_and_saveexec_b32 s5, s4
	s_cbranch_execz .LBB13_11
; %bb.10:
	global_load_u8 v3, v[1:2], off offset:3072
.LBB13_11:
	s_or_b32 exec_lo, exec_lo, s5
	s_add_u32 s5, s2, s7
	s_addc_u32 s6, s3, 0
	v_add_co_u32 v1, s5, s5, v0
	s_delay_alu instid0(VALU_DEP_1) | instskip(SKIP_1) | instid1(SALU_CYCLE_1)
	v_add_co_ci_u32_e64 v2, null, s6, 0, s5
	s_and_saveexec_b32 s5, vcc_lo
	s_xor_b32 s5, exec_lo, s5
	s_cbranch_execnz .LBB13_19
; %bb.12:
	s_or_b32 exec_lo, exec_lo, s5
	s_and_saveexec_b32 s5, s0
	s_cbranch_execnz .LBB13_20
.LBB13_13:
	s_or_b32 exec_lo, exec_lo, s5
	s_and_saveexec_b32 s0, s1
	s_cbranch_execz .LBB13_15
.LBB13_14:
	s_waitcnt vmcnt(0)
	global_store_b8 v[1:2], v6, off offset:2048
.LBB13_15:
	s_or_b32 exec_lo, exec_lo, s0
.LBB13_16:
	s_and_saveexec_b32 s0, s4
	s_cbranch_execnz .LBB13_18
; %bb.17:
	s_nop 0
	s_sendmsg sendmsg(MSG_DEALLOC_VGPRS)
	s_endpgm
.LBB13_18:
	s_add_u32 s0, s2, s7
	s_addc_u32 s1, s3, 0
	v_add_co_u32 v0, s0, s0, v0
	s_delay_alu instid0(VALU_DEP_1)
	v_add_co_ci_u32_e64 v1, null, s1, 0, s0
	s_waitcnt vmcnt(0)
	global_store_b8 v[0:1], v3, off offset:3072
	s_nop 0
	s_sendmsg sendmsg(MSG_DEALLOC_VGPRS)
	s_endpgm
.LBB13_19:
	global_store_b8 v[1:2], v4, off
	s_or_b32 exec_lo, exec_lo, s5
	s_and_saveexec_b32 s5, s0
	s_cbranch_execz .LBB13_13
.LBB13_20:
	s_waitcnt vmcnt(0)
	global_store_b8 v[1:2], v5, off offset:1024
	s_or_b32 exec_lo, exec_lo, s5
	s_and_saveexec_b32 s0, s1
	s_cbranch_execnz .LBB13_14
	s_branch .LBB13_15
	.section	.rodata,"a",@progbits
	.p2align	6, 0x0
	.amdhsa_kernel _ZN7rocprim17ROCPRIM_304000_NS6detail16transform_kernelINS1_24wrapped_transform_configINS0_14default_configEN2at4cuda3cub6detail10OpaqueTypeILi1EEEEESA_PKSA_PSA_NS0_8identityISA_EEEEvT1_mT2_T3_
		.amdhsa_group_segment_fixed_size 0
		.amdhsa_private_segment_fixed_size 0
		.amdhsa_kernarg_size 288
		.amdhsa_user_sgpr_count 15
		.amdhsa_user_sgpr_dispatch_ptr 0
		.amdhsa_user_sgpr_queue_ptr 0
		.amdhsa_user_sgpr_kernarg_segment_ptr 1
		.amdhsa_user_sgpr_dispatch_id 0
		.amdhsa_user_sgpr_private_segment_size 0
		.amdhsa_wavefront_size32 1
		.amdhsa_uses_dynamic_stack 0
		.amdhsa_enable_private_segment 0
		.amdhsa_system_sgpr_workgroup_id_x 1
		.amdhsa_system_sgpr_workgroup_id_y 0
		.amdhsa_system_sgpr_workgroup_id_z 0
		.amdhsa_system_sgpr_workgroup_info 0
		.amdhsa_system_vgpr_workitem_id 0
		.amdhsa_next_free_vgpr 9
		.amdhsa_next_free_sgpr 16
		.amdhsa_reserve_vcc 1
		.amdhsa_float_round_mode_32 0
		.amdhsa_float_round_mode_16_64 0
		.amdhsa_float_denorm_mode_32 3
		.amdhsa_float_denorm_mode_16_64 3
		.amdhsa_dx10_clamp 1
		.amdhsa_ieee_mode 1
		.amdhsa_fp16_overflow 0
		.amdhsa_workgroup_processor_mode 1
		.amdhsa_memory_ordered 1
		.amdhsa_forward_progress 0
		.amdhsa_shared_vgpr_count 0
		.amdhsa_exception_fp_ieee_invalid_op 0
		.amdhsa_exception_fp_denorm_src 0
		.amdhsa_exception_fp_ieee_div_zero 0
		.amdhsa_exception_fp_ieee_overflow 0
		.amdhsa_exception_fp_ieee_underflow 0
		.amdhsa_exception_fp_ieee_inexact 0
		.amdhsa_exception_int_div_zero 0
	.end_amdhsa_kernel
	.section	.text._ZN7rocprim17ROCPRIM_304000_NS6detail16transform_kernelINS1_24wrapped_transform_configINS0_14default_configEN2at4cuda3cub6detail10OpaqueTypeILi1EEEEESA_PKSA_PSA_NS0_8identityISA_EEEEvT1_mT2_T3_,"axG",@progbits,_ZN7rocprim17ROCPRIM_304000_NS6detail16transform_kernelINS1_24wrapped_transform_configINS0_14default_configEN2at4cuda3cub6detail10OpaqueTypeILi1EEEEESA_PKSA_PSA_NS0_8identityISA_EEEEvT1_mT2_T3_,comdat
.Lfunc_end13:
	.size	_ZN7rocprim17ROCPRIM_304000_NS6detail16transform_kernelINS1_24wrapped_transform_configINS0_14default_configEN2at4cuda3cub6detail10OpaqueTypeILi1EEEEESA_PKSA_PSA_NS0_8identityISA_EEEEvT1_mT2_T3_, .Lfunc_end13-_ZN7rocprim17ROCPRIM_304000_NS6detail16transform_kernelINS1_24wrapped_transform_configINS0_14default_configEN2at4cuda3cub6detail10OpaqueTypeILi1EEEEESA_PKSA_PSA_NS0_8identityISA_EEEEvT1_mT2_T3_
                                        ; -- End function
	.section	.AMDGPU.csdata,"",@progbits
; Kernel info:
; codeLenInByte = 560
; NumSgprs: 18
; NumVgprs: 9
; ScratchSize: 0
; MemoryBound: 0
; FloatMode: 240
; IeeeMode: 1
; LDSByteSize: 0 bytes/workgroup (compile time only)
; SGPRBlocks: 2
; VGPRBlocks: 1
; NumSGPRsForWavesPerEU: 18
; NumVGPRsForWavesPerEU: 9
; Occupancy: 16
; WaveLimiterHint : 1
; COMPUTE_PGM_RSRC2:SCRATCH_EN: 0
; COMPUTE_PGM_RSRC2:USER_SGPR: 15
; COMPUTE_PGM_RSRC2:TRAP_HANDLER: 0
; COMPUTE_PGM_RSRC2:TGID_X_EN: 1
; COMPUTE_PGM_RSRC2:TGID_Y_EN: 0
; COMPUTE_PGM_RSRC2:TGID_Z_EN: 0
; COMPUTE_PGM_RSRC2:TIDIG_COMP_CNT: 0
	.section	.text._ZN7rocprim17ROCPRIM_304000_NS6detail25onesweep_iteration_kernelINS1_34wrapped_radix_sort_onesweep_configINS0_14default_configEiN2at4cuda3cub6detail10OpaqueTypeILi1EEEEELb1EPKiPiPKSA_PSA_mNS0_19identity_decomposerEEEvT1_T2_T3_T4_jPT5_SO_PNS1_23onesweep_lookback_stateET6_jjj,"axG",@progbits,_ZN7rocprim17ROCPRIM_304000_NS6detail25onesweep_iteration_kernelINS1_34wrapped_radix_sort_onesweep_configINS0_14default_configEiN2at4cuda3cub6detail10OpaqueTypeILi1EEEEELb1EPKiPiPKSA_PSA_mNS0_19identity_decomposerEEEvT1_T2_T3_T4_jPT5_SO_PNS1_23onesweep_lookback_stateET6_jjj,comdat
	.protected	_ZN7rocprim17ROCPRIM_304000_NS6detail25onesweep_iteration_kernelINS1_34wrapped_radix_sort_onesweep_configINS0_14default_configEiN2at4cuda3cub6detail10OpaqueTypeILi1EEEEELb1EPKiPiPKSA_PSA_mNS0_19identity_decomposerEEEvT1_T2_T3_T4_jPT5_SO_PNS1_23onesweep_lookback_stateET6_jjj ; -- Begin function _ZN7rocprim17ROCPRIM_304000_NS6detail25onesweep_iteration_kernelINS1_34wrapped_radix_sort_onesweep_configINS0_14default_configEiN2at4cuda3cub6detail10OpaqueTypeILi1EEEEELb1EPKiPiPKSA_PSA_mNS0_19identity_decomposerEEEvT1_T2_T3_T4_jPT5_SO_PNS1_23onesweep_lookback_stateET6_jjj
	.globl	_ZN7rocprim17ROCPRIM_304000_NS6detail25onesweep_iteration_kernelINS1_34wrapped_radix_sort_onesweep_configINS0_14default_configEiN2at4cuda3cub6detail10OpaqueTypeILi1EEEEELb1EPKiPiPKSA_PSA_mNS0_19identity_decomposerEEEvT1_T2_T3_T4_jPT5_SO_PNS1_23onesweep_lookback_stateET6_jjj
	.p2align	8
	.type	_ZN7rocprim17ROCPRIM_304000_NS6detail25onesweep_iteration_kernelINS1_34wrapped_radix_sort_onesweep_configINS0_14default_configEiN2at4cuda3cub6detail10OpaqueTypeILi1EEEEELb1EPKiPiPKSA_PSA_mNS0_19identity_decomposerEEEvT1_T2_T3_T4_jPT5_SO_PNS1_23onesweep_lookback_stateET6_jjj,@function
_ZN7rocprim17ROCPRIM_304000_NS6detail25onesweep_iteration_kernelINS1_34wrapped_radix_sort_onesweep_configINS0_14default_configEiN2at4cuda3cub6detail10OpaqueTypeILi1EEEEELb1EPKiPiPKSA_PSA_mNS0_19identity_decomposerEEEvT1_T2_T3_T4_jPT5_SO_PNS1_23onesweep_lookback_stateET6_jjj: ; @_ZN7rocprim17ROCPRIM_304000_NS6detail25onesweep_iteration_kernelINS1_34wrapped_radix_sort_onesweep_configINS0_14default_configEiN2at4cuda3cub6detail10OpaqueTypeILi1EEEEELb1EPKiPiPKSA_PSA_mNS0_19identity_decomposerEEEvT1_T2_T3_T4_jPT5_SO_PNS1_23onesweep_lookback_stateET6_jjj
; %bb.0:
	s_clause 0x3
	s_load_b128 s[64:67], s[0:1], 0x44
	s_load_b256 s[52:59], s[0:1], 0x0
	s_load_b128 s[60:63], s[0:1], 0x28
	s_load_b64 s[68:69], s[0:1], 0x38
	v_and_b32_e32 v1, 0x3ff, v0
	v_mbcnt_lo_u32_b32 v11, -1, 0
	s_mul_i32 s50, s15, 0x2c00
	s_waitcnt lgkmcnt(0)
	s_cmp_ge_u32 s15, s66
	s_cbranch_scc0 .LBB14_224
; %bb.1:
	s_load_b32 s4, s[0:1], 0x20
	v_and_b32_e32 v12, 0x1e0, v1
	s_mov_b32 s51, 0
	s_mul_i32 s48, s66, 0xffffd400
	v_lshlrev_b32_e32 v2, 2, v11
	s_lshl_b64 s[2:3], s[50:51], 2
	v_mul_u32_u24_e32 v10, 22, v12
	v_bfrev_b32_e32 v14, 1
	v_bfrev_b32_e32 v13, 1
	s_delay_alu instid0(VALU_DEP_3)
	v_lshlrev_b32_e32 v3, 2, v10
	v_or_b32_e32 v15, v11, v10
	s_waitcnt lgkmcnt(0)
	s_add_i32 s48, s48, s4
	s_add_u32 s2, s52, s2
	s_addc_u32 s3, s53, s3
	v_add_co_u32 v2, s2, s2, v2
	s_delay_alu instid0(VALU_DEP_1) | instskip(SKIP_1) | instid1(VALU_DEP_3)
	v_add_co_ci_u32_e64 v4, null, s3, 0, s2
	v_cmp_gt_u32_e32 vcc_lo, s48, v15
	v_add_co_u32 v2, s2, v2, v3
	s_delay_alu instid0(VALU_DEP_1)
	v_add_co_ci_u32_e64 v3, s2, 0, v4, s2
	s_and_saveexec_b32 s2, vcc_lo
	s_cbranch_execz .LBB14_3
; %bb.2:
	global_load_b32 v13, v[2:3], off
.LBB14_3:
	s_or_b32 exec_lo, exec_lo, s2
	v_add_nc_u32_e32 v4, 32, v15
	s_delay_alu instid0(VALU_DEP_1) | instskip(NEXT) | instid1(VALU_DEP_1)
	v_cmp_gt_u32_e64 s2, s48, v4
	s_and_saveexec_b32 s3, s2
	s_cbranch_execz .LBB14_5
; %bb.4:
	global_load_b32 v14, v[2:3], off offset:128
.LBB14_5:
	s_or_b32 exec_lo, exec_lo, s3
	v_add_nc_u32_e32 v4, 64, v15
	v_bfrev_b32_e32 v22, 1
	v_bfrev_b32_e32 v18, 1
	s_delay_alu instid0(VALU_DEP_3) | instskip(NEXT) | instid1(VALU_DEP_1)
	v_cmp_gt_u32_e64 s3, s48, v4
	s_and_saveexec_b32 s4, s3
	s_cbranch_execz .LBB14_7
; %bb.6:
	global_load_b32 v18, v[2:3], off offset:256
.LBB14_7:
	s_or_b32 exec_lo, exec_lo, s4
	v_add_nc_u32_e32 v4, 0x60, v15
	s_delay_alu instid0(VALU_DEP_1) | instskip(NEXT) | instid1(VALU_DEP_1)
	v_cmp_gt_u32_e64 s4, s48, v4
	s_and_saveexec_b32 s5, s4
	s_cbranch_execz .LBB14_9
; %bb.8:
	global_load_b32 v22, v[2:3], off offset:384
.LBB14_9:
	s_or_b32 exec_lo, exec_lo, s5
	v_add_nc_u32_e32 v4, 0x80, v15
	v_bfrev_b32_e32 v30, 1
	v_bfrev_b32_e32 v26, 1
	s_delay_alu instid0(VALU_DEP_3) | instskip(NEXT) | instid1(VALU_DEP_1)
	v_cmp_gt_u32_e64 s5, s48, v4
	s_and_saveexec_b32 s6, s5
	s_cbranch_execz .LBB14_11
; %bb.10:
	global_load_b32 v26, v[2:3], off offset:512
.LBB14_11:
	;; [unrolled: 20-line block ×9, first 2 shown]
	s_or_b32 exec_lo, exec_lo, s21
	v_add_nc_u32_e32 v4, 0x260, v15
	s_delay_alu instid0(VALU_DEP_1) | instskip(NEXT) | instid1(VALU_DEP_1)
	v_cmp_gt_u32_e64 s21, s48, v4
	s_and_saveexec_b32 s22, s21
	s_cbranch_execz .LBB14_41
; %bb.40:
	global_load_b32 v6, v[2:3], off offset:2432
.LBB14_41:
	s_or_b32 exec_lo, exec_lo, s22
	v_add_nc_u32_e32 v5, 0x280, v15
	v_bfrev_b32_e32 v4, 1
	s_delay_alu instid0(VALU_DEP_2) | instskip(SKIP_1) | instid1(VALU_DEP_2)
	v_cmp_gt_u32_e64 s22, s48, v5
	v_bfrev_b32_e32 v5, 1
	s_and_saveexec_b32 s23, s22
	s_cbranch_execz .LBB14_43
; %bb.42:
	global_load_b32 v5, v[2:3], off offset:2560
.LBB14_43:
	s_or_b32 exec_lo, exec_lo, s23
	v_add_nc_u32_e32 v15, 0x2a0, v15
	s_delay_alu instid0(VALU_DEP_1) | instskip(NEXT) | instid1(VALU_DEP_1)
	v_cmp_gt_u32_e64 s23, s48, v15
	s_and_saveexec_b32 s24, s23
	s_cbranch_execz .LBB14_45
; %bb.44:
	global_load_b32 v4, v[2:3], off offset:2688
.LBB14_45:
	s_or_b32 exec_lo, exec_lo, s24
	s_clause 0x1
	s_load_b32 s24, s[0:1], 0x5c
	s_load_b32 s49, s[0:1], 0x50
	s_add_u32 s25, s0, 0x50
	s_addc_u32 s26, s1, 0
	v_mov_b32_e32 v17, 0
	s_waitcnt vmcnt(0)
	v_xor_b32_e32 v13, 0x7fffffff, v13
	s_delay_alu instid0(VALU_DEP_1) | instskip(SKIP_4) | instid1(SALU_CYCLE_1)
	v_lshrrev_b32_e32 v2, s64, v13
	s_waitcnt lgkmcnt(0)
	s_lshr_b32 s27, s24, 16
	s_cmp_lt_u32 s15, s49
	s_cselect_b32 s24, 12, 18
	s_add_u32 s24, s25, s24
	s_addc_u32 s25, s26, 0
	global_load_u16 v15, v17, s[24:25]
	s_lshl_b32 s24, -1, s65
	s_delay_alu instid0(SALU_CYCLE_1) | instskip(NEXT) | instid1(SALU_CYCLE_1)
	s_not_b32 s51, s24
	v_and_b32_e32 v19, s51, v2
	v_bfe_u32 v2, v0, 10, 10
	s_delay_alu instid0(VALU_DEP_2)
	v_lshlrev_b32_e32 v16, 30, v19
	v_and_b32_e32 v3, 1, v19
	v_lshlrev_b32_e32 v20, 29, v19
	v_lshlrev_b32_e32 v21, 28, v19
	;; [unrolled: 1-line block ×3, first 2 shown]
	v_not_b32_e32 v28, v16
	v_add_co_u32 v3, s24, v3, -1
	s_delay_alu instid0(VALU_DEP_1)
	v_cndmask_b32_e64 v23, 0, 1, s24
	v_cmp_gt_i32_e64 s25, 0, v16
	v_not_b32_e32 v16, v20
	v_ashrrev_i32_e32 v28, 31, v28
	v_lshlrev_b32_e32 v25, 26, v19
	v_cmp_ne_u32_e64 s24, 0, v23
	v_lshlrev_b32_e32 v27, 25, v19
	v_ashrrev_i32_e32 v16, 31, v16
	v_xor_b32_e32 v28, s25, v28
	v_cmp_gt_i32_e64 s25, 0, v21
	v_xor_b32_e32 v3, s24, v3
	v_cmp_gt_i32_e64 s24, 0, v20
	v_not_b32_e32 v20, v21
	v_not_b32_e32 v21, v24
	v_lshlrev_b32_e32 v23, 24, v19
	v_and_b32_e32 v3, exec_lo, v3
	v_xor_b32_e32 v16, s24, v16
	v_ashrrev_i32_e32 v20, 31, v20
	v_cmp_gt_i32_e64 s24, 0, v24
	v_not_b32_e32 v24, v25
	v_and_b32_e32 v3, v3, v28
	v_ashrrev_i32_e32 v21, 31, v21
	v_xor_b32_e32 v20, s25, v20
	v_cmp_gt_i32_e64 s25, 0, v25
	v_ashrrev_i32_e32 v24, 31, v24
	v_and_b32_e32 v3, v3, v16
	v_not_b32_e32 v16, v27
	v_xor_b32_e32 v21, s24, v21
	v_cmp_gt_i32_e64 s24, 0, v27
	v_xor_b32_e32 v24, s25, v24
	v_and_b32_e32 v3, v3, v20
	v_not_b32_e32 v20, v23
	v_ashrrev_i32_e32 v16, 31, v16
	v_cmp_gt_i32_e64 s25, 0, v23
	v_mul_u32_u24_e32 v23, 9, v1
	v_and_b32_e32 v3, v3, v21
	v_bfe_u32 v21, v0, 20, 10
	v_ashrrev_i32_e32 v20, 31, v20
	v_xor_b32_e32 v16, s24, v16
	s_delay_alu instid0(VALU_DEP_4) | instskip(NEXT) | instid1(VALU_DEP_4)
	v_and_b32_e32 v3, v3, v24
	v_mad_u32_u24 v21, v21, s27, v2
	s_delay_alu instid0(VALU_DEP_4) | instskip(NEXT) | instid1(VALU_DEP_3)
	v_xor_b32_e32 v20, s25, v20
	v_and_b32_e32 v24, v3, v16
	v_lshlrev_b32_e32 v16, 2, v23
	ds_store_2addr_b32 v16, v17, v17 offset0:16 offset1:17
	ds_store_2addr_b32 v16, v17, v17 offset0:18 offset1:19
	;; [unrolled: 1-line block ×4, first 2 shown]
	ds_store_b32 v16, v17 offset:96
	v_lshl_add_u32 v17, v19, 4, v19
	s_waitcnt vmcnt(0) lgkmcnt(0)
	s_barrier
	buffer_gl0_inv
	; wave barrier
	v_mad_u64_u32 v[2:3], null, v21, v15, v[1:2]
	v_and_b32_e32 v3, v24, v20
	s_delay_alu instid0(VALU_DEP_1) | instskip(NEXT) | instid1(VALU_DEP_3)
	v_mbcnt_lo_u32_b32 v15, v3, 0
	v_lshrrev_b32_e32 v2, 5, v2
	v_cmp_ne_u32_e64 s25, 0, v3
	s_delay_alu instid0(VALU_DEP_3) | instskip(NEXT) | instid1(VALU_DEP_3)
	v_cmp_eq_u32_e64 s24, 0, v15
	v_add_lshl_u32 v17, v2, v17, 2
	s_delay_alu instid0(VALU_DEP_2) | instskip(NEXT) | instid1(SALU_CYCLE_1)
	s_and_b32 s25, s25, s24
	s_and_saveexec_b32 s24, s25
	s_cbranch_execz .LBB14_47
; %bb.46:
	v_bcnt_u32_b32 v3, v3, 0
	ds_store_b32 v17, v3 offset:64
.LBB14_47:
	s_or_b32 exec_lo, exec_lo, s24
	v_xor_b32_e32 v14, 0x7fffffff, v14
	; wave barrier
	s_delay_alu instid0(VALU_DEP_1) | instskip(NEXT) | instid1(VALU_DEP_1)
	v_lshrrev_b32_e32 v3, s64, v14
	v_and_b32_e32 v3, s51, v3
	s_delay_alu instid0(VALU_DEP_1)
	v_and_b32_e32 v19, 1, v3
	v_lshlrev_b32_e32 v20, 30, v3
	v_lshlrev_b32_e32 v21, 29, v3
	v_lshlrev_b32_e32 v23, 28, v3
	v_lshlrev_b32_e32 v25, 27, v3
	v_add_co_u32 v19, s24, v19, -1
	s_delay_alu instid0(VALU_DEP_1)
	v_cndmask_b32_e64 v24, 0, 1, s24
	v_not_b32_e32 v29, v20
	v_cmp_gt_i32_e64 s25, 0, v20
	v_not_b32_e32 v20, v21
	v_lshlrev_b32_e32 v27, 26, v3
	v_cmp_ne_u32_e64 s24, 0, v24
	v_ashrrev_i32_e32 v29, 31, v29
	v_lshlrev_b32_e32 v28, 25, v3
	v_ashrrev_i32_e32 v20, 31, v20
	v_lshlrev_b32_e32 v24, 24, v3
	v_xor_b32_e32 v19, s24, v19
	v_cmp_gt_i32_e64 s24, 0, v21
	v_not_b32_e32 v21, v23
	v_xor_b32_e32 v29, s25, v29
	v_cmp_gt_i32_e64 s25, 0, v23
	v_and_b32_e32 v19, exec_lo, v19
	v_not_b32_e32 v23, v25
	v_ashrrev_i32_e32 v21, 31, v21
	v_xor_b32_e32 v20, s24, v20
	v_cmp_gt_i32_e64 s24, 0, v25
	v_and_b32_e32 v19, v19, v29
	v_not_b32_e32 v25, v27
	v_ashrrev_i32_e32 v23, 31, v23
	v_xor_b32_e32 v21, s25, v21
	v_cmp_gt_i32_e64 s25, 0, v27
	v_and_b32_e32 v19, v19, v20
	;; [unrolled: 5-line block ×3, first 2 shown]
	v_not_b32_e32 v21, v24
	v_ashrrev_i32_e32 v20, 31, v20
	v_xor_b32_e32 v25, s25, v25
	v_lshl_add_u32 v3, v3, 4, v3
	v_and_b32_e32 v19, v19, v23
	v_cmp_gt_i32_e64 s25, 0, v24
	v_ashrrev_i32_e32 v23, 31, v21
	v_xor_b32_e32 v20, s24, v20
	v_add_lshl_u32 v21, v2, v3, 2
	v_and_b32_e32 v19, v19, v25
	s_delay_alu instid0(VALU_DEP_4) | instskip(NEXT) | instid1(VALU_DEP_2)
	v_xor_b32_e32 v3, s25, v23
	v_and_b32_e32 v20, v19, v20
	ds_load_b32 v19, v21 offset:64
	; wave barrier
	v_and_b32_e32 v3, v20, v3
	s_delay_alu instid0(VALU_DEP_1) | instskip(SKIP_1) | instid1(VALU_DEP_2)
	v_mbcnt_lo_u32_b32 v20, v3, 0
	v_cmp_ne_u32_e64 s25, 0, v3
	v_cmp_eq_u32_e64 s24, 0, v20
	s_delay_alu instid0(VALU_DEP_1) | instskip(NEXT) | instid1(SALU_CYCLE_1)
	s_and_b32 s25, s25, s24
	s_and_saveexec_b32 s24, s25
	s_cbranch_execz .LBB14_49
; %bb.48:
	s_waitcnt lgkmcnt(0)
	v_bcnt_u32_b32 v3, v3, v19
	ds_store_b32 v21, v3 offset:64
.LBB14_49:
	s_or_b32 exec_lo, exec_lo, s24
	v_xor_b32_e32 v18, 0x7fffffff, v18
	; wave barrier
	s_delay_alu instid0(VALU_DEP_1) | instskip(NEXT) | instid1(VALU_DEP_1)
	v_lshrrev_b32_e32 v3, s64, v18
	v_and_b32_e32 v3, s51, v3
	s_delay_alu instid0(VALU_DEP_1)
	v_and_b32_e32 v23, 1, v3
	v_lshlrev_b32_e32 v24, 30, v3
	v_lshlrev_b32_e32 v25, 29, v3
	;; [unrolled: 1-line block ×4, first 2 shown]
	v_add_co_u32 v23, s24, v23, -1
	s_delay_alu instid0(VALU_DEP_1)
	v_cndmask_b32_e64 v28, 0, 1, s24
	v_not_b32_e32 v33, v24
	v_cmp_gt_i32_e64 s25, 0, v24
	v_not_b32_e32 v24, v25
	v_lshlrev_b32_e32 v31, 26, v3
	v_cmp_ne_u32_e64 s24, 0, v28
	v_ashrrev_i32_e32 v33, 31, v33
	v_lshlrev_b32_e32 v32, 25, v3
	v_ashrrev_i32_e32 v24, 31, v24
	v_lshlrev_b32_e32 v28, 24, v3
	v_xor_b32_e32 v23, s24, v23
	v_cmp_gt_i32_e64 s24, 0, v25
	v_not_b32_e32 v25, v27
	v_xor_b32_e32 v33, s25, v33
	v_cmp_gt_i32_e64 s25, 0, v27
	v_and_b32_e32 v23, exec_lo, v23
	v_not_b32_e32 v27, v29
	v_ashrrev_i32_e32 v25, 31, v25
	v_xor_b32_e32 v24, s24, v24
	v_cmp_gt_i32_e64 s24, 0, v29
	v_and_b32_e32 v23, v23, v33
	v_not_b32_e32 v29, v31
	v_ashrrev_i32_e32 v27, 31, v27
	v_xor_b32_e32 v25, s25, v25
	v_cmp_gt_i32_e64 s25, 0, v31
	v_and_b32_e32 v23, v23, v24
	;; [unrolled: 5-line block ×3, first 2 shown]
	v_not_b32_e32 v25, v28
	v_ashrrev_i32_e32 v24, 31, v24
	v_xor_b32_e32 v29, s25, v29
	v_lshl_add_u32 v3, v3, 4, v3
	v_and_b32_e32 v23, v23, v27
	v_cmp_gt_i32_e64 s25, 0, v28
	v_ashrrev_i32_e32 v27, 31, v25
	v_xor_b32_e32 v24, s24, v24
	v_add_lshl_u32 v25, v2, v3, 2
	v_and_b32_e32 v23, v23, v29
	s_delay_alu instid0(VALU_DEP_4) | instskip(NEXT) | instid1(VALU_DEP_2)
	v_xor_b32_e32 v3, s25, v27
	v_and_b32_e32 v24, v23, v24
	ds_load_b32 v23, v25 offset:64
	; wave barrier
	v_and_b32_e32 v3, v24, v3
	s_delay_alu instid0(VALU_DEP_1) | instskip(SKIP_1) | instid1(VALU_DEP_2)
	v_mbcnt_lo_u32_b32 v24, v3, 0
	v_cmp_ne_u32_e64 s25, 0, v3
	v_cmp_eq_u32_e64 s24, 0, v24
	s_delay_alu instid0(VALU_DEP_1) | instskip(NEXT) | instid1(SALU_CYCLE_1)
	s_and_b32 s25, s25, s24
	s_and_saveexec_b32 s24, s25
	s_cbranch_execz .LBB14_51
; %bb.50:
	s_waitcnt lgkmcnt(0)
	v_bcnt_u32_b32 v3, v3, v23
	ds_store_b32 v25, v3 offset:64
.LBB14_51:
	s_or_b32 exec_lo, exec_lo, s24
	v_xor_b32_e32 v22, 0x7fffffff, v22
	; wave barrier
	s_delay_alu instid0(VALU_DEP_1) | instskip(NEXT) | instid1(VALU_DEP_1)
	v_lshrrev_b32_e32 v3, s64, v22
	v_and_b32_e32 v3, s51, v3
	s_delay_alu instid0(VALU_DEP_1)
	v_and_b32_e32 v27, 1, v3
	v_lshlrev_b32_e32 v28, 30, v3
	v_lshlrev_b32_e32 v29, 29, v3
	;; [unrolled: 1-line block ×4, first 2 shown]
	v_add_co_u32 v27, s24, v27, -1
	s_delay_alu instid0(VALU_DEP_1)
	v_cndmask_b32_e64 v32, 0, 1, s24
	v_not_b32_e32 v37, v28
	v_cmp_gt_i32_e64 s25, 0, v28
	v_not_b32_e32 v28, v29
	v_lshlrev_b32_e32 v35, 26, v3
	v_cmp_ne_u32_e64 s24, 0, v32
	v_ashrrev_i32_e32 v37, 31, v37
	v_lshlrev_b32_e32 v36, 25, v3
	v_ashrrev_i32_e32 v28, 31, v28
	v_lshlrev_b32_e32 v32, 24, v3
	v_xor_b32_e32 v27, s24, v27
	v_cmp_gt_i32_e64 s24, 0, v29
	v_not_b32_e32 v29, v31
	v_xor_b32_e32 v37, s25, v37
	v_cmp_gt_i32_e64 s25, 0, v31
	v_and_b32_e32 v27, exec_lo, v27
	v_not_b32_e32 v31, v33
	v_ashrrev_i32_e32 v29, 31, v29
	v_xor_b32_e32 v28, s24, v28
	v_cmp_gt_i32_e64 s24, 0, v33
	v_and_b32_e32 v27, v27, v37
	v_not_b32_e32 v33, v35
	v_ashrrev_i32_e32 v31, 31, v31
	v_xor_b32_e32 v29, s25, v29
	v_cmp_gt_i32_e64 s25, 0, v35
	v_and_b32_e32 v27, v27, v28
	;; [unrolled: 5-line block ×3, first 2 shown]
	v_not_b32_e32 v29, v32
	v_ashrrev_i32_e32 v28, 31, v28
	v_xor_b32_e32 v33, s25, v33
	v_lshl_add_u32 v3, v3, 4, v3
	v_and_b32_e32 v27, v27, v31
	v_cmp_gt_i32_e64 s25, 0, v32
	v_ashrrev_i32_e32 v31, 31, v29
	v_xor_b32_e32 v28, s24, v28
	v_add_lshl_u32 v29, v2, v3, 2
	v_and_b32_e32 v27, v27, v33
	s_delay_alu instid0(VALU_DEP_4) | instskip(NEXT) | instid1(VALU_DEP_2)
	v_xor_b32_e32 v3, s25, v31
	v_and_b32_e32 v28, v27, v28
	ds_load_b32 v27, v29 offset:64
	; wave barrier
	v_and_b32_e32 v3, v28, v3
	s_delay_alu instid0(VALU_DEP_1) | instskip(SKIP_1) | instid1(VALU_DEP_2)
	v_mbcnt_lo_u32_b32 v28, v3, 0
	v_cmp_ne_u32_e64 s25, 0, v3
	v_cmp_eq_u32_e64 s24, 0, v28
	s_delay_alu instid0(VALU_DEP_1) | instskip(NEXT) | instid1(SALU_CYCLE_1)
	s_and_b32 s25, s25, s24
	s_and_saveexec_b32 s24, s25
	s_cbranch_execz .LBB14_53
; %bb.52:
	s_waitcnt lgkmcnt(0)
	v_bcnt_u32_b32 v3, v3, v27
	ds_store_b32 v29, v3 offset:64
.LBB14_53:
	s_or_b32 exec_lo, exec_lo, s24
	v_xor_b32_e32 v26, 0x7fffffff, v26
	; wave barrier
	s_delay_alu instid0(VALU_DEP_1) | instskip(NEXT) | instid1(VALU_DEP_1)
	v_lshrrev_b32_e32 v3, s64, v26
	v_and_b32_e32 v3, s51, v3
	s_delay_alu instid0(VALU_DEP_1)
	v_and_b32_e32 v31, 1, v3
	v_lshlrev_b32_e32 v32, 30, v3
	v_lshlrev_b32_e32 v33, 29, v3
	;; [unrolled: 1-line block ×4, first 2 shown]
	v_add_co_u32 v31, s24, v31, -1
	s_delay_alu instid0(VALU_DEP_1)
	v_cndmask_b32_e64 v36, 0, 1, s24
	v_not_b32_e32 v41, v32
	v_cmp_gt_i32_e64 s25, 0, v32
	v_not_b32_e32 v32, v33
	v_lshlrev_b32_e32 v39, 26, v3
	v_cmp_ne_u32_e64 s24, 0, v36
	v_ashrrev_i32_e32 v41, 31, v41
	v_lshlrev_b32_e32 v40, 25, v3
	v_ashrrev_i32_e32 v32, 31, v32
	v_lshlrev_b32_e32 v36, 24, v3
	v_xor_b32_e32 v31, s24, v31
	v_cmp_gt_i32_e64 s24, 0, v33
	v_not_b32_e32 v33, v35
	v_xor_b32_e32 v41, s25, v41
	v_cmp_gt_i32_e64 s25, 0, v35
	v_and_b32_e32 v31, exec_lo, v31
	v_not_b32_e32 v35, v37
	v_ashrrev_i32_e32 v33, 31, v33
	v_xor_b32_e32 v32, s24, v32
	v_cmp_gt_i32_e64 s24, 0, v37
	v_and_b32_e32 v31, v31, v41
	v_not_b32_e32 v37, v39
	v_ashrrev_i32_e32 v35, 31, v35
	v_xor_b32_e32 v33, s25, v33
	v_cmp_gt_i32_e64 s25, 0, v39
	v_and_b32_e32 v31, v31, v32
	;; [unrolled: 5-line block ×3, first 2 shown]
	v_not_b32_e32 v33, v36
	v_ashrrev_i32_e32 v32, 31, v32
	v_xor_b32_e32 v37, s25, v37
	v_lshl_add_u32 v3, v3, 4, v3
	v_and_b32_e32 v31, v31, v35
	v_cmp_gt_i32_e64 s25, 0, v36
	v_ashrrev_i32_e32 v35, 31, v33
	v_xor_b32_e32 v32, s24, v32
	v_add_lshl_u32 v33, v2, v3, 2
	v_and_b32_e32 v31, v31, v37
	s_delay_alu instid0(VALU_DEP_4) | instskip(NEXT) | instid1(VALU_DEP_2)
	v_xor_b32_e32 v3, s25, v35
	v_and_b32_e32 v32, v31, v32
	ds_load_b32 v31, v33 offset:64
	; wave barrier
	v_and_b32_e32 v3, v32, v3
	s_delay_alu instid0(VALU_DEP_1) | instskip(SKIP_1) | instid1(VALU_DEP_2)
	v_mbcnt_lo_u32_b32 v32, v3, 0
	v_cmp_ne_u32_e64 s25, 0, v3
	v_cmp_eq_u32_e64 s24, 0, v32
	s_delay_alu instid0(VALU_DEP_1) | instskip(NEXT) | instid1(SALU_CYCLE_1)
	s_and_b32 s25, s25, s24
	s_and_saveexec_b32 s24, s25
	s_cbranch_execz .LBB14_55
; %bb.54:
	s_waitcnt lgkmcnt(0)
	v_bcnt_u32_b32 v3, v3, v31
	ds_store_b32 v33, v3 offset:64
.LBB14_55:
	s_or_b32 exec_lo, exec_lo, s24
	v_xor_b32_e32 v30, 0x7fffffff, v30
	; wave barrier
	s_delay_alu instid0(VALU_DEP_1) | instskip(NEXT) | instid1(VALU_DEP_1)
	v_lshrrev_b32_e32 v3, s64, v30
	v_and_b32_e32 v3, s51, v3
	s_delay_alu instid0(VALU_DEP_1)
	v_and_b32_e32 v35, 1, v3
	v_lshlrev_b32_e32 v36, 30, v3
	v_lshlrev_b32_e32 v37, 29, v3
	v_lshlrev_b32_e32 v39, 28, v3
	v_lshlrev_b32_e32 v41, 27, v3
	v_add_co_u32 v35, s24, v35, -1
	s_delay_alu instid0(VALU_DEP_1)
	v_cndmask_b32_e64 v40, 0, 1, s24
	v_not_b32_e32 v46, v36
	v_cmp_gt_i32_e64 s25, 0, v36
	v_not_b32_e32 v36, v37
	v_lshlrev_b32_e32 v44, 26, v3
	v_cmp_ne_u32_e64 s24, 0, v40
	v_ashrrev_i32_e32 v46, 31, v46
	v_lshlrev_b32_e32 v45, 25, v3
	v_ashrrev_i32_e32 v36, 31, v36
	v_lshlrev_b32_e32 v40, 24, v3
	v_xor_b32_e32 v35, s24, v35
	v_cmp_gt_i32_e64 s24, 0, v37
	v_not_b32_e32 v37, v39
	v_xor_b32_e32 v46, s25, v46
	v_cmp_gt_i32_e64 s25, 0, v39
	v_and_b32_e32 v35, exec_lo, v35
	v_not_b32_e32 v39, v41
	v_ashrrev_i32_e32 v37, 31, v37
	v_xor_b32_e32 v36, s24, v36
	v_cmp_gt_i32_e64 s24, 0, v41
	v_and_b32_e32 v35, v35, v46
	v_not_b32_e32 v41, v44
	v_ashrrev_i32_e32 v39, 31, v39
	v_xor_b32_e32 v37, s25, v37
	v_cmp_gt_i32_e64 s25, 0, v44
	v_and_b32_e32 v35, v35, v36
	;; [unrolled: 5-line block ×3, first 2 shown]
	v_not_b32_e32 v37, v40
	v_ashrrev_i32_e32 v36, 31, v36
	v_xor_b32_e32 v41, s25, v41
	v_lshl_add_u32 v3, v3, 4, v3
	v_and_b32_e32 v35, v35, v39
	v_cmp_gt_i32_e64 s25, 0, v40
	v_ashrrev_i32_e32 v39, 31, v37
	v_xor_b32_e32 v36, s24, v36
	v_add_lshl_u32 v37, v2, v3, 2
	v_and_b32_e32 v35, v35, v41
	s_delay_alu instid0(VALU_DEP_4) | instskip(NEXT) | instid1(VALU_DEP_2)
	v_xor_b32_e32 v3, s25, v39
	v_and_b32_e32 v36, v35, v36
	ds_load_b32 v35, v37 offset:64
	; wave barrier
	v_and_b32_e32 v3, v36, v3
	s_delay_alu instid0(VALU_DEP_1) | instskip(SKIP_1) | instid1(VALU_DEP_2)
	v_mbcnt_lo_u32_b32 v36, v3, 0
	v_cmp_ne_u32_e64 s25, 0, v3
	v_cmp_eq_u32_e64 s24, 0, v36
	s_delay_alu instid0(VALU_DEP_1) | instskip(NEXT) | instid1(SALU_CYCLE_1)
	s_and_b32 s25, s25, s24
	s_and_saveexec_b32 s24, s25
	s_cbranch_execz .LBB14_57
; %bb.56:
	s_waitcnt lgkmcnt(0)
	v_bcnt_u32_b32 v3, v3, v35
	ds_store_b32 v37, v3 offset:64
.LBB14_57:
	s_or_b32 exec_lo, exec_lo, s24
	v_xor_b32_e32 v34, 0x7fffffff, v34
	; wave barrier
	s_delay_alu instid0(VALU_DEP_1) | instskip(NEXT) | instid1(VALU_DEP_1)
	v_lshrrev_b32_e32 v3, s64, v34
	v_and_b32_e32 v3, s51, v3
	s_delay_alu instid0(VALU_DEP_1)
	v_and_b32_e32 v39, 1, v3
	v_lshlrev_b32_e32 v40, 30, v3
	v_lshlrev_b32_e32 v41, 29, v3
	;; [unrolled: 1-line block ×4, first 2 shown]
	v_add_co_u32 v39, s24, v39, -1
	s_delay_alu instid0(VALU_DEP_1)
	v_cndmask_b32_e64 v45, 0, 1, s24
	v_not_b32_e32 v52, v40
	v_cmp_gt_i32_e64 s25, 0, v40
	v_not_b32_e32 v40, v41
	v_lshlrev_b32_e32 v49, 26, v3
	v_cmp_ne_u32_e64 s24, 0, v45
	v_ashrrev_i32_e32 v52, 31, v52
	v_lshlrev_b32_e32 v50, 25, v3
	v_ashrrev_i32_e32 v40, 31, v40
	v_lshlrev_b32_e32 v45, 24, v3
	v_xor_b32_e32 v39, s24, v39
	v_cmp_gt_i32_e64 s24, 0, v41
	v_not_b32_e32 v41, v44
	v_xor_b32_e32 v52, s25, v52
	v_cmp_gt_i32_e64 s25, 0, v44
	v_and_b32_e32 v39, exec_lo, v39
	v_not_b32_e32 v44, v46
	v_ashrrev_i32_e32 v41, 31, v41
	v_xor_b32_e32 v40, s24, v40
	v_cmp_gt_i32_e64 s24, 0, v46
	v_and_b32_e32 v39, v39, v52
	v_not_b32_e32 v46, v49
	v_ashrrev_i32_e32 v44, 31, v44
	v_xor_b32_e32 v41, s25, v41
	v_cmp_gt_i32_e64 s25, 0, v49
	v_and_b32_e32 v39, v39, v40
	;; [unrolled: 5-line block ×3, first 2 shown]
	v_not_b32_e32 v41, v45
	v_ashrrev_i32_e32 v40, 31, v40
	v_xor_b32_e32 v46, s25, v46
	v_lshl_add_u32 v3, v3, 4, v3
	v_and_b32_e32 v39, v39, v44
	v_cmp_gt_i32_e64 s25, 0, v45
	v_ashrrev_i32_e32 v44, 31, v41
	v_xor_b32_e32 v40, s24, v40
	v_add_lshl_u32 v41, v2, v3, 2
	v_and_b32_e32 v39, v39, v46
	s_delay_alu instid0(VALU_DEP_4) | instskip(NEXT) | instid1(VALU_DEP_2)
	v_xor_b32_e32 v3, s25, v44
	v_and_b32_e32 v40, v39, v40
	ds_load_b32 v39, v41 offset:64
	; wave barrier
	v_and_b32_e32 v3, v40, v3
	s_delay_alu instid0(VALU_DEP_1) | instskip(SKIP_1) | instid1(VALU_DEP_2)
	v_mbcnt_lo_u32_b32 v40, v3, 0
	v_cmp_ne_u32_e64 s25, 0, v3
	v_cmp_eq_u32_e64 s24, 0, v40
	s_delay_alu instid0(VALU_DEP_1) | instskip(NEXT) | instid1(SALU_CYCLE_1)
	s_and_b32 s25, s25, s24
	s_and_saveexec_b32 s24, s25
	s_cbranch_execz .LBB14_59
; %bb.58:
	s_waitcnt lgkmcnt(0)
	v_bcnt_u32_b32 v3, v3, v39
	ds_store_b32 v41, v3 offset:64
.LBB14_59:
	s_or_b32 exec_lo, exec_lo, s24
	v_xor_b32_e32 v38, 0x7fffffff, v38
	; wave barrier
	s_delay_alu instid0(VALU_DEP_1) | instskip(NEXT) | instid1(VALU_DEP_1)
	v_lshrrev_b32_e32 v3, s64, v38
	v_and_b32_e32 v3, s51, v3
	s_delay_alu instid0(VALU_DEP_1)
	v_and_b32_e32 v44, 1, v3
	v_lshlrev_b32_e32 v45, 30, v3
	v_lshlrev_b32_e32 v46, 29, v3
	;; [unrolled: 1-line block ×4, first 2 shown]
	v_add_co_u32 v44, s24, v44, -1
	s_delay_alu instid0(VALU_DEP_1)
	v_cndmask_b32_e64 v50, 0, 1, s24
	v_not_b32_e32 v57, v45
	v_cmp_gt_i32_e64 s25, 0, v45
	v_not_b32_e32 v45, v46
	v_lshlrev_b32_e32 v54, 26, v3
	v_cmp_ne_u32_e64 s24, 0, v50
	v_ashrrev_i32_e32 v57, 31, v57
	v_lshlrev_b32_e32 v55, 25, v3
	v_ashrrev_i32_e32 v45, 31, v45
	v_lshlrev_b32_e32 v50, 24, v3
	v_xor_b32_e32 v44, s24, v44
	v_cmp_gt_i32_e64 s24, 0, v46
	v_not_b32_e32 v46, v49
	v_xor_b32_e32 v57, s25, v57
	v_cmp_gt_i32_e64 s25, 0, v49
	v_and_b32_e32 v44, exec_lo, v44
	v_not_b32_e32 v49, v52
	v_ashrrev_i32_e32 v46, 31, v46
	v_xor_b32_e32 v45, s24, v45
	v_cmp_gt_i32_e64 s24, 0, v52
	v_and_b32_e32 v44, v44, v57
	v_not_b32_e32 v52, v54
	v_ashrrev_i32_e32 v49, 31, v49
	v_xor_b32_e32 v46, s25, v46
	v_cmp_gt_i32_e64 s25, 0, v54
	v_and_b32_e32 v44, v44, v45
	;; [unrolled: 5-line block ×3, first 2 shown]
	v_not_b32_e32 v46, v50
	v_ashrrev_i32_e32 v45, 31, v45
	v_xor_b32_e32 v52, s25, v52
	v_lshl_add_u32 v3, v3, 4, v3
	v_and_b32_e32 v44, v44, v49
	v_cmp_gt_i32_e64 s25, 0, v50
	v_ashrrev_i32_e32 v49, 31, v46
	v_xor_b32_e32 v45, s24, v45
	v_add_lshl_u32 v46, v2, v3, 2
	v_and_b32_e32 v44, v44, v52
	s_delay_alu instid0(VALU_DEP_4) | instskip(NEXT) | instid1(VALU_DEP_2)
	v_xor_b32_e32 v3, s25, v49
	v_and_b32_e32 v45, v44, v45
	ds_load_b32 v44, v46 offset:64
	; wave barrier
	v_and_b32_e32 v3, v45, v3
	s_delay_alu instid0(VALU_DEP_1) | instskip(SKIP_1) | instid1(VALU_DEP_2)
	v_mbcnt_lo_u32_b32 v45, v3, 0
	v_cmp_ne_u32_e64 s25, 0, v3
	v_cmp_eq_u32_e64 s24, 0, v45
	s_delay_alu instid0(VALU_DEP_1) | instskip(NEXT) | instid1(SALU_CYCLE_1)
	s_and_b32 s25, s25, s24
	s_and_saveexec_b32 s24, s25
	s_cbranch_execz .LBB14_61
; %bb.60:
	s_waitcnt lgkmcnt(0)
	v_bcnt_u32_b32 v3, v3, v44
	ds_store_b32 v46, v3 offset:64
.LBB14_61:
	s_or_b32 exec_lo, exec_lo, s24
	v_xor_b32_e32 v43, 0x7fffffff, v43
	; wave barrier
	s_delay_alu instid0(VALU_DEP_1) | instskip(NEXT) | instid1(VALU_DEP_1)
	v_lshrrev_b32_e32 v3, s64, v43
	v_and_b32_e32 v3, s51, v3
	s_delay_alu instid0(VALU_DEP_1)
	v_and_b32_e32 v49, 1, v3
	v_lshlrev_b32_e32 v50, 30, v3
	v_lshlrev_b32_e32 v52, 29, v3
	v_lshlrev_b32_e32 v54, 28, v3
	v_lshlrev_b32_e32 v57, 27, v3
	v_add_co_u32 v49, s24, v49, -1
	s_delay_alu instid0(VALU_DEP_1)
	v_cndmask_b32_e64 v55, 0, 1, s24
	v_not_b32_e32 v61, v50
	v_cmp_gt_i32_e64 s25, 0, v50
	v_not_b32_e32 v50, v52
	v_lshlrev_b32_e32 v59, 26, v3
	v_cmp_ne_u32_e64 s24, 0, v55
	v_ashrrev_i32_e32 v61, 31, v61
	v_lshlrev_b32_e32 v60, 25, v3
	v_ashrrev_i32_e32 v50, 31, v50
	v_lshlrev_b32_e32 v55, 24, v3
	v_xor_b32_e32 v49, s24, v49
	v_cmp_gt_i32_e64 s24, 0, v52
	v_not_b32_e32 v52, v54
	v_xor_b32_e32 v61, s25, v61
	v_cmp_gt_i32_e64 s25, 0, v54
	v_and_b32_e32 v49, exec_lo, v49
	v_not_b32_e32 v54, v57
	v_ashrrev_i32_e32 v52, 31, v52
	v_xor_b32_e32 v50, s24, v50
	v_cmp_gt_i32_e64 s24, 0, v57
	v_and_b32_e32 v49, v49, v61
	v_not_b32_e32 v57, v59
	v_ashrrev_i32_e32 v54, 31, v54
	v_xor_b32_e32 v52, s25, v52
	v_cmp_gt_i32_e64 s25, 0, v59
	v_and_b32_e32 v49, v49, v50
	;; [unrolled: 5-line block ×3, first 2 shown]
	v_not_b32_e32 v52, v55
	v_ashrrev_i32_e32 v50, 31, v50
	v_xor_b32_e32 v57, s25, v57
	v_lshl_add_u32 v3, v3, 4, v3
	v_and_b32_e32 v49, v49, v54
	v_cmp_gt_i32_e64 s25, 0, v55
	v_ashrrev_i32_e32 v54, 31, v52
	v_xor_b32_e32 v50, s24, v50
	v_add_lshl_u32 v52, v2, v3, 2
	v_and_b32_e32 v49, v49, v57
	s_delay_alu instid0(VALU_DEP_4) | instskip(NEXT) | instid1(VALU_DEP_2)
	v_xor_b32_e32 v3, s25, v54
	v_and_b32_e32 v50, v49, v50
	ds_load_b32 v49, v52 offset:64
	; wave barrier
	v_and_b32_e32 v3, v50, v3
	s_delay_alu instid0(VALU_DEP_1) | instskip(SKIP_1) | instid1(VALU_DEP_2)
	v_mbcnt_lo_u32_b32 v50, v3, 0
	v_cmp_ne_u32_e64 s25, 0, v3
	v_cmp_eq_u32_e64 s24, 0, v50
	s_delay_alu instid0(VALU_DEP_1) | instskip(NEXT) | instid1(SALU_CYCLE_1)
	s_and_b32 s25, s25, s24
	s_and_saveexec_b32 s24, s25
	s_cbranch_execz .LBB14_63
; %bb.62:
	s_waitcnt lgkmcnt(0)
	v_bcnt_u32_b32 v3, v3, v49
	ds_store_b32 v52, v3 offset:64
.LBB14_63:
	s_or_b32 exec_lo, exec_lo, s24
	v_xor_b32_e32 v48, 0x7fffffff, v48
	; wave barrier
	s_delay_alu instid0(VALU_DEP_1) | instskip(NEXT) | instid1(VALU_DEP_1)
	v_lshrrev_b32_e32 v3, s64, v48
	v_and_b32_e32 v3, s51, v3
	s_delay_alu instid0(VALU_DEP_1)
	v_and_b32_e32 v54, 1, v3
	v_lshlrev_b32_e32 v55, 30, v3
	v_lshlrev_b32_e32 v57, 29, v3
	;; [unrolled: 1-line block ×4, first 2 shown]
	v_add_co_u32 v54, s24, v54, -1
	s_delay_alu instid0(VALU_DEP_1)
	v_cndmask_b32_e64 v60, 0, 1, s24
	v_not_b32_e32 v64, v55
	v_cmp_gt_i32_e64 s25, 0, v55
	v_not_b32_e32 v55, v57
	v_lshlrev_b32_e32 v62, 26, v3
	v_cmp_ne_u32_e64 s24, 0, v60
	v_ashrrev_i32_e32 v64, 31, v64
	v_lshlrev_b32_e32 v63, 25, v3
	v_ashrrev_i32_e32 v55, 31, v55
	v_lshlrev_b32_e32 v60, 24, v3
	v_xor_b32_e32 v54, s24, v54
	v_cmp_gt_i32_e64 s24, 0, v57
	v_not_b32_e32 v57, v59
	v_xor_b32_e32 v64, s25, v64
	v_cmp_gt_i32_e64 s25, 0, v59
	v_and_b32_e32 v54, exec_lo, v54
	v_not_b32_e32 v59, v61
	v_ashrrev_i32_e32 v57, 31, v57
	v_xor_b32_e32 v55, s24, v55
	v_cmp_gt_i32_e64 s24, 0, v61
	v_and_b32_e32 v54, v54, v64
	v_not_b32_e32 v61, v62
	v_ashrrev_i32_e32 v59, 31, v59
	v_xor_b32_e32 v57, s25, v57
	v_cmp_gt_i32_e64 s25, 0, v62
	v_and_b32_e32 v54, v54, v55
	;; [unrolled: 5-line block ×3, first 2 shown]
	v_not_b32_e32 v57, v60
	v_ashrrev_i32_e32 v55, 31, v55
	v_xor_b32_e32 v61, s25, v61
	v_lshl_add_u32 v3, v3, 4, v3
	v_and_b32_e32 v54, v54, v59
	v_cmp_gt_i32_e64 s25, 0, v60
	v_ashrrev_i32_e32 v59, 31, v57
	v_xor_b32_e32 v55, s24, v55
	v_add_lshl_u32 v57, v2, v3, 2
	v_and_b32_e32 v54, v54, v61
	s_delay_alu instid0(VALU_DEP_4) | instskip(NEXT) | instid1(VALU_DEP_2)
	v_xor_b32_e32 v3, s25, v59
	v_and_b32_e32 v55, v54, v55
	ds_load_b32 v54, v57 offset:64
	; wave barrier
	v_and_b32_e32 v3, v55, v3
	s_delay_alu instid0(VALU_DEP_1) | instskip(SKIP_1) | instid1(VALU_DEP_2)
	v_mbcnt_lo_u32_b32 v55, v3, 0
	v_cmp_ne_u32_e64 s25, 0, v3
	v_cmp_eq_u32_e64 s24, 0, v55
	s_delay_alu instid0(VALU_DEP_1) | instskip(NEXT) | instid1(SALU_CYCLE_1)
	s_and_b32 s25, s25, s24
	s_and_saveexec_b32 s24, s25
	s_cbranch_execz .LBB14_65
; %bb.64:
	s_waitcnt lgkmcnt(0)
	v_bcnt_u32_b32 v3, v3, v54
	ds_store_b32 v57, v3 offset:64
.LBB14_65:
	s_or_b32 exec_lo, exec_lo, s24
	v_xor_b32_e32 v53, 0x7fffffff, v53
	; wave barrier
	s_delay_alu instid0(VALU_DEP_1) | instskip(NEXT) | instid1(VALU_DEP_1)
	v_lshrrev_b32_e32 v3, s64, v53
	v_and_b32_e32 v3, s51, v3
	s_delay_alu instid0(VALU_DEP_1)
	v_and_b32_e32 v59, 1, v3
	v_lshlrev_b32_e32 v60, 30, v3
	v_lshlrev_b32_e32 v61, 29, v3
	v_lshlrev_b32_e32 v62, 28, v3
	v_lshlrev_b32_e32 v64, 27, v3
	v_add_co_u32 v59, s24, v59, -1
	s_delay_alu instid0(VALU_DEP_1)
	v_cndmask_b32_e64 v63, 0, 1, s24
	v_not_b32_e32 v67, v60
	v_cmp_gt_i32_e64 s25, 0, v60
	v_not_b32_e32 v60, v61
	v_lshlrev_b32_e32 v65, 26, v3
	v_cmp_ne_u32_e64 s24, 0, v63
	v_ashrrev_i32_e32 v67, 31, v67
	v_lshlrev_b32_e32 v66, 25, v3
	v_ashrrev_i32_e32 v60, 31, v60
	v_lshlrev_b32_e32 v63, 24, v3
	v_xor_b32_e32 v59, s24, v59
	v_cmp_gt_i32_e64 s24, 0, v61
	v_not_b32_e32 v61, v62
	v_xor_b32_e32 v67, s25, v67
	v_cmp_gt_i32_e64 s25, 0, v62
	v_and_b32_e32 v59, exec_lo, v59
	v_not_b32_e32 v62, v64
	v_ashrrev_i32_e32 v61, 31, v61
	v_xor_b32_e32 v60, s24, v60
	v_cmp_gt_i32_e64 s24, 0, v64
	v_and_b32_e32 v59, v59, v67
	v_not_b32_e32 v64, v65
	v_ashrrev_i32_e32 v62, 31, v62
	v_xor_b32_e32 v61, s25, v61
	v_cmp_gt_i32_e64 s25, 0, v65
	v_and_b32_e32 v59, v59, v60
	;; [unrolled: 5-line block ×3, first 2 shown]
	v_not_b32_e32 v61, v63
	v_ashrrev_i32_e32 v60, 31, v60
	v_xor_b32_e32 v64, s25, v64
	v_lshl_add_u32 v3, v3, 4, v3
	v_and_b32_e32 v59, v59, v62
	v_cmp_gt_i32_e64 s25, 0, v63
	v_ashrrev_i32_e32 v62, 31, v61
	v_xor_b32_e32 v60, s24, v60
	v_add_lshl_u32 v61, v2, v3, 2
	v_and_b32_e32 v59, v59, v64
	s_delay_alu instid0(VALU_DEP_4) | instskip(NEXT) | instid1(VALU_DEP_2)
	v_xor_b32_e32 v3, s25, v62
	v_and_b32_e32 v60, v59, v60
	ds_load_b32 v59, v61 offset:64
	; wave barrier
	v_and_b32_e32 v3, v60, v3
	s_delay_alu instid0(VALU_DEP_1) | instskip(SKIP_1) | instid1(VALU_DEP_2)
	v_mbcnt_lo_u32_b32 v60, v3, 0
	v_cmp_ne_u32_e64 s25, 0, v3
	v_cmp_eq_u32_e64 s24, 0, v60
	s_delay_alu instid0(VALU_DEP_1) | instskip(NEXT) | instid1(SALU_CYCLE_1)
	s_and_b32 s25, s25, s24
	s_and_saveexec_b32 s24, s25
	s_cbranch_execz .LBB14_67
; %bb.66:
	s_waitcnt lgkmcnt(0)
	v_bcnt_u32_b32 v3, v3, v59
	ds_store_b32 v61, v3 offset:64
.LBB14_67:
	s_or_b32 exec_lo, exec_lo, s24
	v_xor_b32_e32 v58, 0x7fffffff, v58
	; wave barrier
	s_delay_alu instid0(VALU_DEP_1) | instskip(NEXT) | instid1(VALU_DEP_1)
	v_lshrrev_b32_e32 v3, s64, v58
	v_and_b32_e32 v3, s51, v3
	s_delay_alu instid0(VALU_DEP_1)
	v_and_b32_e32 v62, 1, v3
	v_lshlrev_b32_e32 v63, 30, v3
	v_lshlrev_b32_e32 v64, 29, v3
	v_lshlrev_b32_e32 v65, 28, v3
	v_lshlrev_b32_e32 v67, 27, v3
	v_add_co_u32 v62, s24, v62, -1
	s_delay_alu instid0(VALU_DEP_1)
	v_cndmask_b32_e64 v66, 0, 1, s24
	v_not_b32_e32 v70, v63
	v_cmp_gt_i32_e64 s25, 0, v63
	v_not_b32_e32 v63, v64
	v_lshlrev_b32_e32 v68, 26, v3
	v_cmp_ne_u32_e64 s24, 0, v66
	v_ashrrev_i32_e32 v70, 31, v70
	v_lshlrev_b32_e32 v69, 25, v3
	v_ashrrev_i32_e32 v63, 31, v63
	v_lshlrev_b32_e32 v66, 24, v3
	v_xor_b32_e32 v62, s24, v62
	v_cmp_gt_i32_e64 s24, 0, v64
	v_not_b32_e32 v64, v65
	v_xor_b32_e32 v70, s25, v70
	v_cmp_gt_i32_e64 s25, 0, v65
	v_and_b32_e32 v62, exec_lo, v62
	v_not_b32_e32 v65, v67
	v_ashrrev_i32_e32 v64, 31, v64
	v_xor_b32_e32 v63, s24, v63
	v_cmp_gt_i32_e64 s24, 0, v67
	v_and_b32_e32 v62, v62, v70
	v_not_b32_e32 v67, v68
	v_ashrrev_i32_e32 v65, 31, v65
	v_xor_b32_e32 v64, s25, v64
	v_cmp_gt_i32_e64 s25, 0, v68
	v_and_b32_e32 v62, v62, v63
	;; [unrolled: 5-line block ×3, first 2 shown]
	v_not_b32_e32 v64, v66
	v_ashrrev_i32_e32 v63, 31, v63
	v_xor_b32_e32 v67, s25, v67
	v_lshl_add_u32 v3, v3, 4, v3
	v_and_b32_e32 v62, v62, v65
	v_cmp_gt_i32_e64 s25, 0, v66
	v_ashrrev_i32_e32 v65, 31, v64
	v_xor_b32_e32 v63, s24, v63
	v_add_lshl_u32 v64, v2, v3, 2
	v_and_b32_e32 v62, v62, v67
	s_delay_alu instid0(VALU_DEP_4) | instskip(NEXT) | instid1(VALU_DEP_2)
	v_xor_b32_e32 v3, s25, v65
	v_and_b32_e32 v63, v62, v63
	ds_load_b32 v62, v64 offset:64
	; wave barrier
	v_and_b32_e32 v3, v63, v3
	s_delay_alu instid0(VALU_DEP_1) | instskip(SKIP_1) | instid1(VALU_DEP_2)
	v_mbcnt_lo_u32_b32 v63, v3, 0
	v_cmp_ne_u32_e64 s25, 0, v3
	v_cmp_eq_u32_e64 s24, 0, v63
	s_delay_alu instid0(VALU_DEP_1) | instskip(NEXT) | instid1(SALU_CYCLE_1)
	s_and_b32 s25, s25, s24
	s_and_saveexec_b32 s24, s25
	s_cbranch_execz .LBB14_69
; %bb.68:
	s_waitcnt lgkmcnt(0)
	v_bcnt_u32_b32 v3, v3, v62
	ds_store_b32 v64, v3 offset:64
.LBB14_69:
	s_or_b32 exec_lo, exec_lo, s24
	v_xor_b32_e32 v56, 0x7fffffff, v56
	; wave barrier
	s_delay_alu instid0(VALU_DEP_1) | instskip(NEXT) | instid1(VALU_DEP_1)
	v_lshrrev_b32_e32 v3, s64, v56
	v_and_b32_e32 v3, s51, v3
	s_delay_alu instid0(VALU_DEP_1)
	v_and_b32_e32 v65, 1, v3
	v_lshlrev_b32_e32 v66, 30, v3
	v_lshlrev_b32_e32 v67, 29, v3
	;; [unrolled: 1-line block ×4, first 2 shown]
	v_add_co_u32 v65, s24, v65, -1
	s_delay_alu instid0(VALU_DEP_1)
	v_cndmask_b32_e64 v69, 0, 1, s24
	v_not_b32_e32 v73, v66
	v_cmp_gt_i32_e64 s25, 0, v66
	v_not_b32_e32 v66, v67
	v_lshlrev_b32_e32 v71, 26, v3
	v_cmp_ne_u32_e64 s24, 0, v69
	v_ashrrev_i32_e32 v73, 31, v73
	v_lshlrev_b32_e32 v72, 25, v3
	v_ashrrev_i32_e32 v66, 31, v66
	v_lshlrev_b32_e32 v69, 24, v3
	v_xor_b32_e32 v65, s24, v65
	v_cmp_gt_i32_e64 s24, 0, v67
	v_not_b32_e32 v67, v68
	v_xor_b32_e32 v73, s25, v73
	v_cmp_gt_i32_e64 s25, 0, v68
	v_and_b32_e32 v65, exec_lo, v65
	v_not_b32_e32 v68, v70
	v_ashrrev_i32_e32 v67, 31, v67
	v_xor_b32_e32 v66, s24, v66
	v_cmp_gt_i32_e64 s24, 0, v70
	v_and_b32_e32 v65, v65, v73
	v_not_b32_e32 v70, v71
	v_ashrrev_i32_e32 v68, 31, v68
	v_xor_b32_e32 v67, s25, v67
	v_cmp_gt_i32_e64 s25, 0, v71
	v_and_b32_e32 v65, v65, v66
	;; [unrolled: 5-line block ×3, first 2 shown]
	v_not_b32_e32 v67, v69
	v_ashrrev_i32_e32 v66, 31, v66
	v_xor_b32_e32 v70, s25, v70
	v_lshl_add_u32 v3, v3, 4, v3
	v_and_b32_e32 v65, v65, v68
	v_cmp_gt_i32_e64 s25, 0, v69
	v_ashrrev_i32_e32 v68, 31, v67
	v_xor_b32_e32 v66, s24, v66
	v_add_lshl_u32 v67, v2, v3, 2
	v_and_b32_e32 v65, v65, v70
	s_delay_alu instid0(VALU_DEP_4) | instskip(NEXT) | instid1(VALU_DEP_2)
	v_xor_b32_e32 v3, s25, v68
	v_and_b32_e32 v66, v65, v66
	ds_load_b32 v65, v67 offset:64
	; wave barrier
	v_and_b32_e32 v3, v66, v3
	s_delay_alu instid0(VALU_DEP_1) | instskip(SKIP_1) | instid1(VALU_DEP_2)
	v_mbcnt_lo_u32_b32 v66, v3, 0
	v_cmp_ne_u32_e64 s25, 0, v3
	v_cmp_eq_u32_e64 s24, 0, v66
	s_delay_alu instid0(VALU_DEP_1) | instskip(NEXT) | instid1(SALU_CYCLE_1)
	s_and_b32 s25, s25, s24
	s_and_saveexec_b32 s24, s25
	s_cbranch_execz .LBB14_71
; %bb.70:
	s_waitcnt lgkmcnt(0)
	v_bcnt_u32_b32 v3, v3, v65
	ds_store_b32 v67, v3 offset:64
.LBB14_71:
	s_or_b32 exec_lo, exec_lo, s24
	v_xor_b32_e32 v51, 0x7fffffff, v51
	; wave barrier
	s_delay_alu instid0(VALU_DEP_1) | instskip(NEXT) | instid1(VALU_DEP_1)
	v_lshrrev_b32_e32 v3, s64, v51
	v_and_b32_e32 v3, s51, v3
	s_delay_alu instid0(VALU_DEP_1)
	v_and_b32_e32 v68, 1, v3
	v_lshlrev_b32_e32 v69, 30, v3
	v_lshlrev_b32_e32 v70, 29, v3
	;; [unrolled: 1-line block ×4, first 2 shown]
	v_add_co_u32 v68, s24, v68, -1
	s_delay_alu instid0(VALU_DEP_1)
	v_cndmask_b32_e64 v72, 0, 1, s24
	v_not_b32_e32 v76, v69
	v_cmp_gt_i32_e64 s25, 0, v69
	v_not_b32_e32 v69, v70
	v_lshlrev_b32_e32 v74, 26, v3
	v_cmp_ne_u32_e64 s24, 0, v72
	v_ashrrev_i32_e32 v76, 31, v76
	v_lshlrev_b32_e32 v75, 25, v3
	v_ashrrev_i32_e32 v69, 31, v69
	v_lshlrev_b32_e32 v72, 24, v3
	v_xor_b32_e32 v68, s24, v68
	v_cmp_gt_i32_e64 s24, 0, v70
	v_not_b32_e32 v70, v71
	v_xor_b32_e32 v76, s25, v76
	v_cmp_gt_i32_e64 s25, 0, v71
	v_and_b32_e32 v68, exec_lo, v68
	v_not_b32_e32 v71, v73
	v_ashrrev_i32_e32 v70, 31, v70
	v_xor_b32_e32 v69, s24, v69
	v_cmp_gt_i32_e64 s24, 0, v73
	v_and_b32_e32 v68, v68, v76
	v_not_b32_e32 v73, v74
	v_ashrrev_i32_e32 v71, 31, v71
	v_xor_b32_e32 v70, s25, v70
	v_cmp_gt_i32_e64 s25, 0, v74
	v_and_b32_e32 v68, v68, v69
	;; [unrolled: 5-line block ×3, first 2 shown]
	v_not_b32_e32 v70, v72
	v_ashrrev_i32_e32 v69, 31, v69
	v_xor_b32_e32 v73, s25, v73
	v_lshl_add_u32 v3, v3, 4, v3
	v_and_b32_e32 v68, v68, v71
	v_cmp_gt_i32_e64 s25, 0, v72
	v_ashrrev_i32_e32 v71, 31, v70
	v_xor_b32_e32 v69, s24, v69
	v_add_lshl_u32 v70, v2, v3, 2
	v_and_b32_e32 v68, v68, v73
	s_delay_alu instid0(VALU_DEP_4) | instskip(NEXT) | instid1(VALU_DEP_2)
	v_xor_b32_e32 v3, s25, v71
	v_and_b32_e32 v69, v68, v69
	ds_load_b32 v68, v70 offset:64
	; wave barrier
	v_and_b32_e32 v3, v69, v3
	s_delay_alu instid0(VALU_DEP_1) | instskip(SKIP_1) | instid1(VALU_DEP_2)
	v_mbcnt_lo_u32_b32 v69, v3, 0
	v_cmp_ne_u32_e64 s25, 0, v3
	v_cmp_eq_u32_e64 s24, 0, v69
	s_delay_alu instid0(VALU_DEP_1) | instskip(NEXT) | instid1(SALU_CYCLE_1)
	s_and_b32 s25, s25, s24
	s_and_saveexec_b32 s24, s25
	s_cbranch_execz .LBB14_73
; %bb.72:
	s_waitcnt lgkmcnt(0)
	v_bcnt_u32_b32 v3, v3, v68
	ds_store_b32 v70, v3 offset:64
.LBB14_73:
	s_or_b32 exec_lo, exec_lo, s24
	v_xor_b32_e32 v47, 0x7fffffff, v47
	; wave barrier
	s_delay_alu instid0(VALU_DEP_1) | instskip(NEXT) | instid1(VALU_DEP_1)
	v_lshrrev_b32_e32 v3, s64, v47
	v_and_b32_e32 v3, s51, v3
	s_delay_alu instid0(VALU_DEP_1)
	v_and_b32_e32 v71, 1, v3
	v_lshlrev_b32_e32 v72, 30, v3
	v_lshlrev_b32_e32 v73, 29, v3
	;; [unrolled: 1-line block ×4, first 2 shown]
	v_add_co_u32 v71, s24, v71, -1
	s_delay_alu instid0(VALU_DEP_1)
	v_cndmask_b32_e64 v75, 0, 1, s24
	v_not_b32_e32 v79, v72
	v_cmp_gt_i32_e64 s25, 0, v72
	v_not_b32_e32 v72, v73
	v_lshlrev_b32_e32 v77, 26, v3
	v_cmp_ne_u32_e64 s24, 0, v75
	v_ashrrev_i32_e32 v79, 31, v79
	v_lshlrev_b32_e32 v78, 25, v3
	v_ashrrev_i32_e32 v72, 31, v72
	v_lshlrev_b32_e32 v75, 24, v3
	v_xor_b32_e32 v71, s24, v71
	v_cmp_gt_i32_e64 s24, 0, v73
	v_not_b32_e32 v73, v74
	v_xor_b32_e32 v79, s25, v79
	v_cmp_gt_i32_e64 s25, 0, v74
	v_and_b32_e32 v71, exec_lo, v71
	v_not_b32_e32 v74, v76
	v_ashrrev_i32_e32 v73, 31, v73
	v_xor_b32_e32 v72, s24, v72
	v_cmp_gt_i32_e64 s24, 0, v76
	v_and_b32_e32 v71, v71, v79
	v_not_b32_e32 v76, v77
	v_ashrrev_i32_e32 v74, 31, v74
	v_xor_b32_e32 v73, s25, v73
	v_cmp_gt_i32_e64 s25, 0, v77
	v_and_b32_e32 v71, v71, v72
	v_not_b32_e32 v72, v78
	v_ashrrev_i32_e32 v76, 31, v76
	v_xor_b32_e32 v74, s24, v74
	v_cmp_gt_i32_e64 s24, 0, v78
	v_and_b32_e32 v71, v71, v73
	v_not_b32_e32 v73, v75
	v_ashrrev_i32_e32 v72, 31, v72
	v_xor_b32_e32 v76, s25, v76
	v_lshl_add_u32 v3, v3, 4, v3
	v_and_b32_e32 v71, v71, v74
	v_cmp_gt_i32_e64 s25, 0, v75
	v_ashrrev_i32_e32 v73, 31, v73
	v_xor_b32_e32 v72, s24, v72
	v_add_lshl_u32 v74, v2, v3, 2
	v_and_b32_e32 v71, v71, v76
	s_delay_alu instid0(VALU_DEP_4) | instskip(NEXT) | instid1(VALU_DEP_2)
	v_xor_b32_e32 v3, s25, v73
	v_and_b32_e32 v71, v71, v72
	ds_load_b32 v72, v74 offset:64
	; wave barrier
	v_and_b32_e32 v3, v71, v3
	s_delay_alu instid0(VALU_DEP_1) | instskip(SKIP_1) | instid1(VALU_DEP_2)
	v_mbcnt_lo_u32_b32 v73, v3, 0
	v_cmp_ne_u32_e64 s25, 0, v3
	v_cmp_eq_u32_e64 s24, 0, v73
	s_delay_alu instid0(VALU_DEP_1) | instskip(NEXT) | instid1(SALU_CYCLE_1)
	s_and_b32 s25, s25, s24
	s_and_saveexec_b32 s24, s25
	s_cbranch_execz .LBB14_75
; %bb.74:
	s_waitcnt lgkmcnt(0)
	v_bcnt_u32_b32 v3, v3, v72
	ds_store_b32 v74, v3 offset:64
.LBB14_75:
	s_or_b32 exec_lo, exec_lo, s24
	v_xor_b32_e32 v71, 0x7fffffff, v42
	; wave barrier
	s_delay_alu instid0(VALU_DEP_1) | instskip(NEXT) | instid1(VALU_DEP_1)
	v_lshrrev_b32_e32 v3, s64, v71
	v_and_b32_e32 v3, s51, v3
	s_delay_alu instid0(VALU_DEP_1)
	v_and_b32_e32 v42, 1, v3
	v_lshlrev_b32_e32 v75, 30, v3
	v_lshlrev_b32_e32 v76, 29, v3
	;; [unrolled: 1-line block ×4, first 2 shown]
	v_add_co_u32 v42, s24, v42, -1
	s_delay_alu instid0(VALU_DEP_1)
	v_cndmask_b32_e64 v78, 0, 1, s24
	v_not_b32_e32 v82, v75
	v_cmp_gt_i32_e64 s25, 0, v75
	v_not_b32_e32 v75, v76
	v_lshlrev_b32_e32 v80, 26, v3
	v_cmp_ne_u32_e64 s24, 0, v78
	v_ashrrev_i32_e32 v82, 31, v82
	v_lshlrev_b32_e32 v81, 25, v3
	v_ashrrev_i32_e32 v75, 31, v75
	v_lshlrev_b32_e32 v78, 24, v3
	v_xor_b32_e32 v42, s24, v42
	v_cmp_gt_i32_e64 s24, 0, v76
	v_not_b32_e32 v76, v77
	v_xor_b32_e32 v82, s25, v82
	v_cmp_gt_i32_e64 s25, 0, v77
	v_and_b32_e32 v42, exec_lo, v42
	v_not_b32_e32 v77, v79
	v_ashrrev_i32_e32 v76, 31, v76
	v_xor_b32_e32 v75, s24, v75
	v_cmp_gt_i32_e64 s24, 0, v79
	v_and_b32_e32 v42, v42, v82
	v_not_b32_e32 v79, v80
	v_ashrrev_i32_e32 v77, 31, v77
	v_xor_b32_e32 v76, s25, v76
	v_cmp_gt_i32_e64 s25, 0, v80
	v_and_b32_e32 v42, v42, v75
	v_not_b32_e32 v75, v81
	v_ashrrev_i32_e32 v79, 31, v79
	v_xor_b32_e32 v77, s24, v77
	v_cmp_gt_i32_e64 s24, 0, v81
	v_and_b32_e32 v42, v42, v76
	v_not_b32_e32 v76, v78
	v_ashrrev_i32_e32 v75, 31, v75
	v_xor_b32_e32 v79, s25, v79
	v_lshl_add_u32 v3, v3, 4, v3
	v_and_b32_e32 v42, v42, v77
	v_cmp_gt_i32_e64 s25, 0, v78
	v_ashrrev_i32_e32 v76, 31, v76
	v_xor_b32_e32 v75, s24, v75
	v_add_lshl_u32 v77, v2, v3, 2
	v_and_b32_e32 v42, v42, v79
	s_delay_alu instid0(VALU_DEP_4) | instskip(NEXT) | instid1(VALU_DEP_2)
	v_xor_b32_e32 v3, s25, v76
	v_and_b32_e32 v75, v42, v75
	ds_load_b32 v42, v77 offset:64
	; wave barrier
	v_and_b32_e32 v3, v75, v3
	s_delay_alu instid0(VALU_DEP_1) | instskip(SKIP_1) | instid1(VALU_DEP_2)
	v_mbcnt_lo_u32_b32 v76, v3, 0
	v_cmp_ne_u32_e64 s25, 0, v3
	v_cmp_eq_u32_e64 s24, 0, v76
	s_delay_alu instid0(VALU_DEP_1) | instskip(NEXT) | instid1(SALU_CYCLE_1)
	s_and_b32 s25, s25, s24
	s_and_saveexec_b32 s24, s25
	s_cbranch_execz .LBB14_77
; %bb.76:
	s_waitcnt lgkmcnt(0)
	v_bcnt_u32_b32 v3, v3, v42
	ds_store_b32 v77, v3 offset:64
.LBB14_77:
	s_or_b32 exec_lo, exec_lo, s24
	v_xor_b32_e32 v75, 0x7fffffff, v9
	; wave barrier
	s_delay_alu instid0(VALU_DEP_1) | instskip(NEXT) | instid1(VALU_DEP_1)
	v_lshrrev_b32_e32 v3, s64, v75
	v_and_b32_e32 v3, s51, v3
	s_delay_alu instid0(VALU_DEP_1)
	v_and_b32_e32 v9, 1, v3
	v_lshlrev_b32_e32 v78, 30, v3
	v_lshlrev_b32_e32 v79, 29, v3
	;; [unrolled: 1-line block ×4, first 2 shown]
	v_add_co_u32 v9, s24, v9, -1
	s_delay_alu instid0(VALU_DEP_1)
	v_cndmask_b32_e64 v81, 0, 1, s24
	v_not_b32_e32 v85, v78
	v_cmp_gt_i32_e64 s25, 0, v78
	v_not_b32_e32 v78, v79
	v_lshlrev_b32_e32 v83, 26, v3
	v_cmp_ne_u32_e64 s24, 0, v81
	v_ashrrev_i32_e32 v85, 31, v85
	v_lshlrev_b32_e32 v84, 25, v3
	v_ashrrev_i32_e32 v78, 31, v78
	v_lshlrev_b32_e32 v81, 24, v3
	v_xor_b32_e32 v9, s24, v9
	v_cmp_gt_i32_e64 s24, 0, v79
	v_not_b32_e32 v79, v80
	v_xor_b32_e32 v85, s25, v85
	v_cmp_gt_i32_e64 s25, 0, v80
	v_and_b32_e32 v9, exec_lo, v9
	v_not_b32_e32 v80, v82
	v_ashrrev_i32_e32 v79, 31, v79
	v_xor_b32_e32 v78, s24, v78
	v_cmp_gt_i32_e64 s24, 0, v82
	v_and_b32_e32 v9, v9, v85
	v_not_b32_e32 v82, v83
	v_ashrrev_i32_e32 v80, 31, v80
	v_xor_b32_e32 v79, s25, v79
	v_cmp_gt_i32_e64 s25, 0, v83
	v_and_b32_e32 v9, v9, v78
	;; [unrolled: 5-line block ×3, first 2 shown]
	v_not_b32_e32 v79, v81
	v_ashrrev_i32_e32 v78, 31, v78
	v_xor_b32_e32 v82, s25, v82
	v_lshl_add_u32 v3, v3, 4, v3
	v_and_b32_e32 v9, v9, v80
	v_cmp_gt_i32_e64 s25, 0, v81
	v_ashrrev_i32_e32 v79, 31, v79
	v_xor_b32_e32 v78, s24, v78
	v_add_lshl_u32 v81, v2, v3, 2
	v_and_b32_e32 v9, v9, v82
	s_delay_alu instid0(VALU_DEP_4) | instskip(SKIP_2) | instid1(VALU_DEP_1)
	v_xor_b32_e32 v3, s25, v79
	ds_load_b32 v79, v81 offset:64
	v_and_b32_e32 v9, v9, v78
	; wave barrier
	v_and_b32_e32 v3, v9, v3
	s_delay_alu instid0(VALU_DEP_1) | instskip(SKIP_1) | instid1(VALU_DEP_2)
	v_mbcnt_lo_u32_b32 v80, v3, 0
	v_cmp_ne_u32_e64 s25, 0, v3
	v_cmp_eq_u32_e64 s24, 0, v80
	s_delay_alu instid0(VALU_DEP_1) | instskip(NEXT) | instid1(SALU_CYCLE_1)
	s_and_b32 s25, s25, s24
	s_and_saveexec_b32 s24, s25
	s_cbranch_execz .LBB14_79
; %bb.78:
	s_waitcnt lgkmcnt(0)
	v_bcnt_u32_b32 v3, v3, v79
	ds_store_b32 v81, v3 offset:64
.LBB14_79:
	s_or_b32 exec_lo, exec_lo, s24
	v_xor_b32_e32 v78, 0x7fffffff, v8
	; wave barrier
	s_delay_alu instid0(VALU_DEP_1) | instskip(NEXT) | instid1(VALU_DEP_1)
	v_lshrrev_b32_e32 v3, s64, v78
	v_and_b32_e32 v3, s51, v3
	s_delay_alu instid0(VALU_DEP_1)
	v_and_b32_e32 v8, 1, v3
	v_lshlrev_b32_e32 v9, 30, v3
	v_lshlrev_b32_e32 v82, 29, v3
	;; [unrolled: 1-line block ×4, first 2 shown]
	v_add_co_u32 v8, s24, v8, -1
	s_delay_alu instid0(VALU_DEP_1)
	v_cndmask_b32_e64 v84, 0, 1, s24
	v_not_b32_e32 v88, v9
	v_cmp_gt_i32_e64 s25, 0, v9
	v_not_b32_e32 v9, v82
	v_lshlrev_b32_e32 v86, 26, v3
	v_cmp_ne_u32_e64 s24, 0, v84
	v_ashrrev_i32_e32 v88, 31, v88
	v_lshlrev_b32_e32 v87, 25, v3
	v_ashrrev_i32_e32 v9, 31, v9
	v_lshlrev_b32_e32 v84, 24, v3
	v_xor_b32_e32 v8, s24, v8
	v_cmp_gt_i32_e64 s24, 0, v82
	v_not_b32_e32 v82, v83
	v_xor_b32_e32 v88, s25, v88
	v_cmp_gt_i32_e64 s25, 0, v83
	v_and_b32_e32 v8, exec_lo, v8
	v_not_b32_e32 v83, v85
	v_ashrrev_i32_e32 v82, 31, v82
	v_xor_b32_e32 v9, s24, v9
	v_cmp_gt_i32_e64 s24, 0, v85
	v_and_b32_e32 v8, v8, v88
	v_not_b32_e32 v85, v86
	v_ashrrev_i32_e32 v83, 31, v83
	v_xor_b32_e32 v82, s25, v82
	v_cmp_gt_i32_e64 s25, 0, v86
	v_and_b32_e32 v8, v8, v9
	;; [unrolled: 5-line block ×3, first 2 shown]
	v_not_b32_e32 v82, v84
	v_ashrrev_i32_e32 v9, 31, v9
	v_xor_b32_e32 v85, s25, v85
	v_lshl_add_u32 v3, v3, 4, v3
	v_and_b32_e32 v8, v8, v83
	v_cmp_gt_i32_e64 s25, 0, v84
	v_ashrrev_i32_e32 v82, 31, v82
	v_xor_b32_e32 v9, s24, v9
	s_delay_alu instid0(VALU_DEP_4) | instskip(SKIP_1) | instid1(VALU_DEP_4)
	v_and_b32_e32 v8, v8, v85
	v_add_lshl_u32 v85, v2, v3, 2
	v_xor_b32_e32 v3, s25, v82
	s_delay_alu instid0(VALU_DEP_3) | instskip(SKIP_2) | instid1(VALU_DEP_1)
	v_and_b32_e32 v8, v8, v9
	ds_load_b32 v83, v85 offset:64
	; wave barrier
	v_and_b32_e32 v3, v8, v3
	v_mbcnt_lo_u32_b32 v84, v3, 0
	v_cmp_ne_u32_e64 s25, 0, v3
	s_delay_alu instid0(VALU_DEP_2) | instskip(NEXT) | instid1(VALU_DEP_1)
	v_cmp_eq_u32_e64 s24, 0, v84
	s_and_b32 s25, s25, s24
	s_delay_alu instid0(SALU_CYCLE_1)
	s_and_saveexec_b32 s24, s25
	s_cbranch_execz .LBB14_81
; %bb.80:
	s_waitcnt lgkmcnt(0)
	v_bcnt_u32_b32 v3, v3, v83
	ds_store_b32 v85, v3 offset:64
.LBB14_81:
	s_or_b32 exec_lo, exec_lo, s24
	v_xor_b32_e32 v82, 0x7fffffff, v7
	; wave barrier
	s_delay_alu instid0(VALU_DEP_1) | instskip(NEXT) | instid1(VALU_DEP_1)
	v_lshrrev_b32_e32 v3, s64, v82
	v_and_b32_e32 v3, s51, v3
	s_delay_alu instid0(VALU_DEP_1)
	v_and_b32_e32 v7, 1, v3
	v_lshlrev_b32_e32 v8, 30, v3
	v_lshlrev_b32_e32 v9, 29, v3
	;; [unrolled: 1-line block ×4, first 2 shown]
	v_add_co_u32 v7, s24, v7, -1
	s_delay_alu instid0(VALU_DEP_1)
	v_cndmask_b32_e64 v87, 0, 1, s24
	v_not_b32_e32 v91, v8
	v_cmp_gt_i32_e64 s25, 0, v8
	v_not_b32_e32 v8, v9
	v_lshlrev_b32_e32 v89, 26, v3
	v_cmp_ne_u32_e64 s24, 0, v87
	v_ashrrev_i32_e32 v91, 31, v91
	v_lshlrev_b32_e32 v90, 25, v3
	v_ashrrev_i32_e32 v8, 31, v8
	v_lshlrev_b32_e32 v87, 24, v3
	v_xor_b32_e32 v7, s24, v7
	v_cmp_gt_i32_e64 s24, 0, v9
	v_not_b32_e32 v9, v86
	v_xor_b32_e32 v91, s25, v91
	v_cmp_gt_i32_e64 s25, 0, v86
	v_and_b32_e32 v7, exec_lo, v7
	v_not_b32_e32 v86, v88
	v_ashrrev_i32_e32 v9, 31, v9
	v_xor_b32_e32 v8, s24, v8
	v_cmp_gt_i32_e64 s24, 0, v88
	v_and_b32_e32 v7, v7, v91
	v_not_b32_e32 v88, v89
	v_ashrrev_i32_e32 v86, 31, v86
	v_xor_b32_e32 v9, s25, v9
	v_cmp_gt_i32_e64 s25, 0, v89
	v_and_b32_e32 v7, v7, v8
	;; [unrolled: 5-line block ×3, first 2 shown]
	v_not_b32_e32 v9, v87
	v_ashrrev_i32_e32 v8, 31, v8
	v_xor_b32_e32 v88, s25, v88
	v_lshl_add_u32 v3, v3, 4, v3
	v_and_b32_e32 v7, v7, v86
	v_cmp_gt_i32_e64 s25, 0, v87
	v_ashrrev_i32_e32 v9, 31, v9
	v_xor_b32_e32 v8, s24, v8
	v_add_lshl_u32 v89, v2, v3, 2
	v_and_b32_e32 v7, v7, v88
	s_delay_alu instid0(VALU_DEP_4) | instskip(SKIP_2) | instid1(VALU_DEP_1)
	v_xor_b32_e32 v3, s25, v9
	ds_load_b32 v87, v89 offset:64
	v_and_b32_e32 v7, v7, v8
	; wave barrier
	v_and_b32_e32 v3, v7, v3
	s_delay_alu instid0(VALU_DEP_1) | instskip(SKIP_1) | instid1(VALU_DEP_2)
	v_mbcnt_lo_u32_b32 v88, v3, 0
	v_cmp_ne_u32_e64 s25, 0, v3
	v_cmp_eq_u32_e64 s24, 0, v88
	s_delay_alu instid0(VALU_DEP_1) | instskip(NEXT) | instid1(SALU_CYCLE_1)
	s_and_b32 s25, s25, s24
	s_and_saveexec_b32 s24, s25
	s_cbranch_execz .LBB14_83
; %bb.82:
	s_waitcnt lgkmcnt(0)
	v_bcnt_u32_b32 v3, v3, v87
	ds_store_b32 v89, v3 offset:64
.LBB14_83:
	s_or_b32 exec_lo, exec_lo, s24
	v_xor_b32_e32 v86, 0x7fffffff, v6
	; wave barrier
	s_delay_alu instid0(VALU_DEP_1) | instskip(NEXT) | instid1(VALU_DEP_1)
	v_lshrrev_b32_e32 v3, s64, v86
	v_and_b32_e32 v3, s51, v3
	s_delay_alu instid0(VALU_DEP_1)
	v_and_b32_e32 v6, 1, v3
	v_lshlrev_b32_e32 v7, 30, v3
	v_lshlrev_b32_e32 v8, 29, v3
	;; [unrolled: 1-line block ×4, first 2 shown]
	v_add_co_u32 v6, s24, v6, -1
	s_delay_alu instid0(VALU_DEP_1)
	v_cndmask_b32_e64 v90, 0, 1, s24
	v_not_b32_e32 v94, v7
	v_cmp_gt_i32_e64 s25, 0, v7
	v_not_b32_e32 v7, v8
	v_lshlrev_b32_e32 v92, 26, v3
	v_cmp_ne_u32_e64 s24, 0, v90
	v_ashrrev_i32_e32 v94, 31, v94
	v_lshlrev_b32_e32 v93, 25, v3
	v_ashrrev_i32_e32 v7, 31, v7
	v_lshlrev_b32_e32 v90, 24, v3
	v_xor_b32_e32 v6, s24, v6
	v_cmp_gt_i32_e64 s24, 0, v8
	v_not_b32_e32 v8, v9
	v_xor_b32_e32 v94, s25, v94
	v_cmp_gt_i32_e64 s25, 0, v9
	v_and_b32_e32 v6, exec_lo, v6
	v_not_b32_e32 v9, v91
	v_ashrrev_i32_e32 v8, 31, v8
	v_xor_b32_e32 v7, s24, v7
	v_cmp_gt_i32_e64 s24, 0, v91
	v_and_b32_e32 v6, v6, v94
	v_not_b32_e32 v91, v92
	v_ashrrev_i32_e32 v9, 31, v9
	v_xor_b32_e32 v8, s25, v8
	v_cmp_gt_i32_e64 s25, 0, v92
	v_and_b32_e32 v6, v6, v7
	;; [unrolled: 5-line block ×3, first 2 shown]
	v_not_b32_e32 v8, v90
	v_ashrrev_i32_e32 v7, 31, v7
	v_xor_b32_e32 v91, s25, v91
	v_lshl_add_u32 v3, v3, 4, v3
	v_and_b32_e32 v6, v6, v9
	v_cmp_gt_i32_e64 s25, 0, v90
	v_ashrrev_i32_e32 v8, 31, v8
	v_xor_b32_e32 v7, s24, v7
	v_add_lshl_u32 v93, v2, v3, 2
	v_and_b32_e32 v6, v6, v91
	s_delay_alu instid0(VALU_DEP_4) | instskip(SKIP_2) | instid1(VALU_DEP_1)
	v_xor_b32_e32 v3, s25, v8
	ds_load_b32 v91, v93 offset:64
	v_and_b32_e32 v6, v6, v7
	; wave barrier
	v_and_b32_e32 v3, v6, v3
	s_delay_alu instid0(VALU_DEP_1) | instskip(SKIP_1) | instid1(VALU_DEP_2)
	v_mbcnt_lo_u32_b32 v92, v3, 0
	v_cmp_ne_u32_e64 s25, 0, v3
	v_cmp_eq_u32_e64 s24, 0, v92
	s_delay_alu instid0(VALU_DEP_1) | instskip(NEXT) | instid1(SALU_CYCLE_1)
	s_and_b32 s25, s25, s24
	s_and_saveexec_b32 s24, s25
	s_cbranch_execz .LBB14_85
; %bb.84:
	s_waitcnt lgkmcnt(0)
	v_bcnt_u32_b32 v3, v3, v91
	ds_store_b32 v93, v3 offset:64
.LBB14_85:
	s_or_b32 exec_lo, exec_lo, s24
	v_xor_b32_e32 v90, 0x7fffffff, v5
	; wave barrier
	s_delay_alu instid0(VALU_DEP_1) | instskip(NEXT) | instid1(VALU_DEP_1)
	v_lshrrev_b32_e32 v3, s64, v90
	v_and_b32_e32 v3, s51, v3
	s_delay_alu instid0(VALU_DEP_1)
	v_and_b32_e32 v5, 1, v3
	v_lshlrev_b32_e32 v6, 30, v3
	v_lshlrev_b32_e32 v7, 29, v3
	;; [unrolled: 1-line block ×4, first 2 shown]
	v_add_co_u32 v5, s24, v5, -1
	s_delay_alu instid0(VALU_DEP_1)
	v_cndmask_b32_e64 v9, 0, 1, s24
	v_not_b32_e32 v97, v6
	v_cmp_gt_i32_e64 s25, 0, v6
	v_not_b32_e32 v6, v7
	v_lshlrev_b32_e32 v95, 26, v3
	v_cmp_ne_u32_e64 s24, 0, v9
	v_ashrrev_i32_e32 v97, 31, v97
	v_lshlrev_b32_e32 v96, 25, v3
	v_ashrrev_i32_e32 v6, 31, v6
	v_lshlrev_b32_e32 v9, 24, v3
	v_xor_b32_e32 v5, s24, v5
	v_cmp_gt_i32_e64 s24, 0, v7
	v_not_b32_e32 v7, v8
	v_xor_b32_e32 v97, s25, v97
	v_cmp_gt_i32_e64 s25, 0, v8
	v_and_b32_e32 v5, exec_lo, v5
	v_not_b32_e32 v8, v94
	v_ashrrev_i32_e32 v7, 31, v7
	v_xor_b32_e32 v6, s24, v6
	v_cmp_gt_i32_e64 s24, 0, v94
	v_and_b32_e32 v5, v5, v97
	v_not_b32_e32 v94, v95
	v_ashrrev_i32_e32 v8, 31, v8
	v_xor_b32_e32 v7, s25, v7
	v_cmp_gt_i32_e64 s25, 0, v95
	v_and_b32_e32 v5, v5, v6
	;; [unrolled: 5-line block ×3, first 2 shown]
	v_not_b32_e32 v7, v9
	v_ashrrev_i32_e32 v6, 31, v6
	v_xor_b32_e32 v94, s25, v94
	v_lshl_add_u32 v3, v3, 4, v3
	v_and_b32_e32 v5, v5, v8
	v_cmp_gt_i32_e64 s25, 0, v9
	v_ashrrev_i32_e32 v7, 31, v7
	v_xor_b32_e32 v6, s24, v6
	v_add_lshl_u32 v97, v2, v3, 2
	v_and_b32_e32 v5, v5, v94
	s_delay_alu instid0(VALU_DEP_4) | instskip(SKIP_2) | instid1(VALU_DEP_1)
	v_xor_b32_e32 v3, s25, v7
	ds_load_b32 v95, v97 offset:64
	v_and_b32_e32 v5, v5, v6
	; wave barrier
	v_and_b32_e32 v3, v5, v3
	s_delay_alu instid0(VALU_DEP_1) | instskip(SKIP_1) | instid1(VALU_DEP_2)
	v_mbcnt_lo_u32_b32 v96, v3, 0
	v_cmp_ne_u32_e64 s25, 0, v3
	v_cmp_eq_u32_e64 s24, 0, v96
	s_delay_alu instid0(VALU_DEP_1) | instskip(NEXT) | instid1(SALU_CYCLE_1)
	s_and_b32 s25, s25, s24
	s_and_saveexec_b32 s24, s25
	s_cbranch_execz .LBB14_87
; %bb.86:
	s_waitcnt lgkmcnt(0)
	v_bcnt_u32_b32 v3, v3, v95
	ds_store_b32 v97, v3 offset:64
.LBB14_87:
	s_or_b32 exec_lo, exec_lo, s24
	v_xor_b32_e32 v94, 0x7fffffff, v4
	; wave barrier
	v_add_nc_u32_e32 v101, 64, v16
	s_delay_alu instid0(VALU_DEP_2) | instskip(NEXT) | instid1(VALU_DEP_1)
	v_lshrrev_b32_e32 v3, s64, v94
	v_and_b32_e32 v3, s51, v3
	s_delay_alu instid0(VALU_DEP_1)
	v_and_b32_e32 v4, 1, v3
	v_lshlrev_b32_e32 v5, 30, v3
	v_lshlrev_b32_e32 v6, 29, v3
	;; [unrolled: 1-line block ×4, first 2 shown]
	v_add_co_u32 v4, s24, v4, -1
	s_delay_alu instid0(VALU_DEP_1)
	v_cndmask_b32_e64 v8, 0, 1, s24
	v_not_b32_e32 v100, v5
	v_cmp_gt_i32_e64 s25, 0, v5
	v_not_b32_e32 v5, v6
	v_lshlrev_b32_e32 v98, 26, v3
	v_cmp_ne_u32_e64 s24, 0, v8
	v_ashrrev_i32_e32 v100, 31, v100
	v_lshlrev_b32_e32 v99, 25, v3
	v_ashrrev_i32_e32 v5, 31, v5
	v_lshlrev_b32_e32 v8, 24, v3
	v_xor_b32_e32 v4, s24, v4
	v_cmp_gt_i32_e64 s24, 0, v6
	v_not_b32_e32 v6, v7
	v_xor_b32_e32 v100, s25, v100
	v_cmp_gt_i32_e64 s25, 0, v7
	v_and_b32_e32 v4, exec_lo, v4
	v_not_b32_e32 v7, v9
	v_ashrrev_i32_e32 v6, 31, v6
	v_xor_b32_e32 v5, s24, v5
	v_cmp_gt_i32_e64 s24, 0, v9
	v_and_b32_e32 v4, v4, v100
	v_not_b32_e32 v9, v98
	v_ashrrev_i32_e32 v7, 31, v7
	v_xor_b32_e32 v6, s25, v6
	v_cmp_gt_i32_e64 s25, 0, v98
	v_and_b32_e32 v4, v4, v5
	;; [unrolled: 5-line block ×3, first 2 shown]
	v_not_b32_e32 v6, v8
	v_ashrrev_i32_e32 v5, 31, v5
	v_xor_b32_e32 v9, s25, v9
	v_lshl_add_u32 v3, v3, 4, v3
	v_and_b32_e32 v4, v4, v7
	v_cmp_gt_i32_e64 s25, 0, v8
	v_ashrrev_i32_e32 v6, 31, v6
	v_xor_b32_e32 v5, s24, v5
	v_add_lshl_u32 v100, v2, v3, 2
	v_and_b32_e32 v4, v4, v9
	s_delay_alu instid0(VALU_DEP_4) | instskip(SKIP_2) | instid1(VALU_DEP_1)
	v_xor_b32_e32 v2, s25, v6
	ds_load_b32 v98, v100 offset:64
	v_and_b32_e32 v3, v4, v5
	; wave barrier
	v_and_b32_e32 v2, v3, v2
	s_delay_alu instid0(VALU_DEP_1) | instskip(SKIP_1) | instid1(VALU_DEP_2)
	v_mbcnt_lo_u32_b32 v99, v2, 0
	v_cmp_ne_u32_e64 s25, 0, v2
	v_cmp_eq_u32_e64 s24, 0, v99
	s_delay_alu instid0(VALU_DEP_1) | instskip(NEXT) | instid1(SALU_CYCLE_1)
	s_and_b32 s25, s25, s24
	s_and_saveexec_b32 s24, s25
	s_cbranch_execz .LBB14_89
; %bb.88:
	s_waitcnt lgkmcnt(0)
	v_bcnt_u32_b32 v2, v2, v98
	ds_store_b32 v100, v2 offset:64
.LBB14_89:
	s_or_b32 exec_lo, exec_lo, s24
	; wave barrier
	s_waitcnt lgkmcnt(0)
	s_barrier
	buffer_gl0_inv
	ds_load_2addr_b32 v[8:9], v16 offset0:16 offset1:17
	ds_load_2addr_b32 v[6:7], v101 offset0:2 offset1:3
	;; [unrolled: 1-line block ×4, first 2 shown]
	ds_load_b32 v102, v101 offset:32
	v_min_u32_e32 v12, 0x1e0, v12
	s_mov_b32 s29, exec_lo
	s_delay_alu instid0(VALU_DEP_1) | instskip(SKIP_3) | instid1(VALU_DEP_1)
	v_or_b32_e32 v12, 31, v12
	s_waitcnt lgkmcnt(3)
	v_add3_u32 v103, v9, v8, v6
	s_waitcnt lgkmcnt(2)
	v_add3_u32 v103, v103, v7, v4
	s_waitcnt lgkmcnt(1)
	s_delay_alu instid0(VALU_DEP_1) | instskip(SKIP_1) | instid1(VALU_DEP_1)
	v_add3_u32 v103, v103, v5, v2
	s_waitcnt lgkmcnt(0)
	v_add3_u32 v102, v103, v3, v102
	v_and_b32_e32 v103, 15, v11
	s_delay_alu instid0(VALU_DEP_2) | instskip(NEXT) | instid1(VALU_DEP_2)
	v_mov_b32_dpp v104, v102 row_shr:1 row_mask:0xf bank_mask:0xf
	v_cmp_eq_u32_e64 s24, 0, v103
	v_cmp_lt_u32_e64 s25, 1, v103
	v_cmp_lt_u32_e64 s26, 3, v103
	;; [unrolled: 1-line block ×3, first 2 shown]
	s_delay_alu instid0(VALU_DEP_4) | instskip(NEXT) | instid1(VALU_DEP_1)
	v_cndmask_b32_e64 v104, v104, 0, s24
	v_add_nc_u32_e32 v102, v104, v102
	s_delay_alu instid0(VALU_DEP_1) | instskip(NEXT) | instid1(VALU_DEP_1)
	v_mov_b32_dpp v104, v102 row_shr:2 row_mask:0xf bank_mask:0xf
	v_cndmask_b32_e64 v104, 0, v104, s25
	s_delay_alu instid0(VALU_DEP_1) | instskip(NEXT) | instid1(VALU_DEP_1)
	v_add_nc_u32_e32 v102, v102, v104
	v_mov_b32_dpp v104, v102 row_shr:4 row_mask:0xf bank_mask:0xf
	s_delay_alu instid0(VALU_DEP_1) | instskip(NEXT) | instid1(VALU_DEP_1)
	v_cndmask_b32_e64 v104, 0, v104, s26
	v_add_nc_u32_e32 v102, v102, v104
	s_delay_alu instid0(VALU_DEP_1) | instskip(NEXT) | instid1(VALU_DEP_1)
	v_mov_b32_dpp v104, v102 row_shr:8 row_mask:0xf bank_mask:0xf
	v_cndmask_b32_e64 v103, 0, v104, s27
	v_bfe_i32 v104, v11, 4, 1
	s_delay_alu instid0(VALU_DEP_2) | instskip(SKIP_4) | instid1(VALU_DEP_2)
	v_add_nc_u32_e32 v102, v102, v103
	ds_swizzle_b32 v103, v102 offset:swizzle(BROADCAST,32,15)
	s_waitcnt lgkmcnt(0)
	v_and_b32_e32 v104, v104, v103
	v_lshrrev_b32_e32 v103, 5, v1
	v_add_nc_u32_e32 v102, v102, v104
	v_cmpx_eq_u32_e64 v12, v1
	s_cbranch_execz .LBB14_91
; %bb.90:
	s_delay_alu instid0(VALU_DEP_3)
	v_lshlrev_b32_e32 v12, 2, v103
	ds_store_b32 v12, v102
.LBB14_91:
	s_or_b32 exec_lo, exec_lo, s29
	v_lshlrev_b32_e32 v12, 2, v1
	s_mov_b32 s29, exec_lo
	s_waitcnt lgkmcnt(0)
	s_barrier
	buffer_gl0_inv
	v_cmpx_gt_u32_e32 16, v1
	s_cbranch_execz .LBB14_93
; %bb.92:
	ds_load_b32 v104, v12
	s_waitcnt lgkmcnt(0)
	v_mov_b32_dpp v105, v104 row_shr:1 row_mask:0xf bank_mask:0xf
	s_delay_alu instid0(VALU_DEP_1) | instskip(NEXT) | instid1(VALU_DEP_1)
	v_cndmask_b32_e64 v105, v105, 0, s24
	v_add_nc_u32_e32 v104, v105, v104
	s_delay_alu instid0(VALU_DEP_1) | instskip(NEXT) | instid1(VALU_DEP_1)
	v_mov_b32_dpp v105, v104 row_shr:2 row_mask:0xf bank_mask:0xf
	v_cndmask_b32_e64 v105, 0, v105, s25
	s_delay_alu instid0(VALU_DEP_1) | instskip(NEXT) | instid1(VALU_DEP_1)
	v_add_nc_u32_e32 v104, v104, v105
	v_mov_b32_dpp v105, v104 row_shr:4 row_mask:0xf bank_mask:0xf
	s_delay_alu instid0(VALU_DEP_1) | instskip(NEXT) | instid1(VALU_DEP_1)
	v_cndmask_b32_e64 v105, 0, v105, s26
	v_add_nc_u32_e32 v104, v104, v105
	s_delay_alu instid0(VALU_DEP_1) | instskip(NEXT) | instid1(VALU_DEP_1)
	v_mov_b32_dpp v105, v104 row_shr:8 row_mask:0xf bank_mask:0xf
	v_cndmask_b32_e64 v105, 0, v105, s27
	s_delay_alu instid0(VALU_DEP_1)
	v_add_nc_u32_e32 v104, v104, v105
	ds_store_b32 v12, v104
.LBB14_93:
	s_or_b32 exec_lo, exec_lo, s29
	v_mov_b32_e32 v104, 0
	s_mov_b32 s25, exec_lo
	s_waitcnt lgkmcnt(0)
	s_barrier
	buffer_gl0_inv
	v_cmpx_lt_u32_e32 31, v1
	s_cbranch_execz .LBB14_95
; %bb.94:
	v_lshl_add_u32 v103, v103, 2, -4
	ds_load_b32 v104, v103
.LBB14_95:
	s_or_b32 exec_lo, exec_lo, s25
	v_add_nc_u32_e32 v103, -1, v11
	s_waitcnt lgkmcnt(0)
	v_add_nc_u32_e32 v102, v104, v102
	s_delay_alu instid0(VALU_DEP_2) | instskip(NEXT) | instid1(VALU_DEP_1)
	v_cmp_gt_i32_e64 s24, 0, v103
	v_cndmask_b32_e64 v103, v103, v11, s24
	v_cmp_eq_u32_e64 s24, 0, v11
	s_delay_alu instid0(VALU_DEP_2) | instskip(SKIP_4) | instid1(VALU_DEP_1)
	v_lshlrev_b32_e32 v103, 2, v103
	ds_bpermute_b32 v102, v103, v102
	s_waitcnt lgkmcnt(0)
	v_cndmask_b32_e64 v102, v102, v104, s24
	v_cmp_ne_u32_e64 s24, 0, v1
	v_cndmask_b32_e64 v102, 0, v102, s24
	v_cmp_gt_u32_e64 s24, 0x100, v1
	s_delay_alu instid0(VALU_DEP_2) | instskip(NEXT) | instid1(VALU_DEP_1)
	v_add_nc_u32_e32 v8, v102, v8
	v_add_nc_u32_e32 v9, v8, v9
	s_delay_alu instid0(VALU_DEP_1) | instskip(NEXT) | instid1(VALU_DEP_1)
	v_add_nc_u32_e32 v6, v9, v6
	v_add_nc_u32_e32 v7, v6, v7
	s_delay_alu instid0(VALU_DEP_1) | instskip(NEXT) | instid1(VALU_DEP_1)
	;; [unrolled: 3-line block ×3, first 2 shown]
	v_add_nc_u32_e32 v2, v5, v2
	v_add_nc_u32_e32 v3, v2, v3
	ds_store_2addr_b32 v16, v102, v8 offset0:16 offset1:17
	ds_store_2addr_b32 v101, v9, v6 offset0:2 offset1:3
	;; [unrolled: 1-line block ×4, first 2 shown]
	ds_store_b32 v101, v3 offset:32
	s_waitcnt lgkmcnt(0)
	s_barrier
	buffer_gl0_inv
	ds_load_b32 v2, v17 offset:64
	ds_load_b32 v3, v21 offset:64
	;; [unrolled: 1-line block ×22, first 2 shown]
                                        ; implicit-def: $vgpr8
                                        ; implicit-def: $vgpr9
	s_and_saveexec_b32 s26, s24
	s_cbranch_execz .LBB14_99
; %bb.96:
	v_mul_u32_u24_e32 v8, 17, v1
	s_mov_b32 s27, exec_lo
	s_delay_alu instid0(VALU_DEP_1)
	v_dual_mov_b32 v9, 0x2c00 :: v_dual_lshlrev_b32 v16, 2, v8
	ds_load_b32 v8, v16 offset:64
	v_cmpx_ne_u32_e32 0xff, v1
	s_cbranch_execz .LBB14_98
; %bb.97:
	ds_load_b32 v9, v16 offset:132
.LBB14_98:
	s_or_b32 exec_lo, exec_lo, s27
	s_waitcnt lgkmcnt(0)
	v_sub_nc_u32_e32 v9, v9, v8
.LBB14_99:
	s_or_b32 exec_lo, exec_lo, s26
	s_waitcnt lgkmcnt(21)
	v_add_nc_u32_e32 v15, v2, v15
	s_waitcnt lgkmcnt(20)
	v_add3_u32 v16, v20, v19, v3
	s_waitcnt lgkmcnt(19)
	v_add3_u32 v17, v24, v23, v4
	;; [unrolled: 2-line block ×4, first 2 shown]
	v_lshlrev_b32_e32 v2, 2, v15
	v_lshlrev_b32_e32 v3, 2, v16
	s_waitcnt lgkmcnt(16)
	v_add3_u32 v21, v36, v35, v7
	s_waitcnt lgkmcnt(15)
	v_add3_u32 v23, v40, v39, v25
	;; [unrolled: 2-line block ×3, first 2 shown]
	s_waitcnt lgkmcnt(0)
	s_barrier
	buffer_gl0_inv
	ds_store_b32 v2, v13 offset:2048
	ds_store_b32 v3, v14 offset:2048
	v_lshlrev_b32_e32 v2, 2, v17
	v_add3_u32 v25, v50, v49, v33
	v_lshlrev_b32_e32 v3, 2, v19
	v_add3_u32 v27, v55, v54, v37
	;; [unrolled: 2-line block ×5, first 2 shown]
	ds_store_b32 v2, v18 offset:2048
	ds_store_b32 v3, v22 offset:2048
	;; [unrolled: 1-line block ×5, first 2 shown]
	v_lshlrev_b32_e32 v2, 2, v24
	v_add3_u32 v32, v69, v68, v57
	v_lshlrev_b32_e32 v3, 2, v25
	v_add3_u32 v33, v73, v72, v61
	;; [unrolled: 2-line block ×5, first 2 shown]
	ds_store_b32 v2, v38 offset:2048
	ds_store_b32 v3, v43 offset:2048
	;; [unrolled: 1-line block ×5, first 2 shown]
	v_lshlrev_b32_e32 v2, 2, v31
	v_add3_u32 v39, v88, v87, v74
	v_lshlrev_b32_e32 v3, 2, v32
	v_add3_u32 v40, v92, v91, v77
	;; [unrolled: 2-line block ×4, first 2 shown]
	v_lshlrev_b32_e32 v6, 2, v36
	ds_store_b32 v2, v56 offset:2048
	ds_store_b32 v3, v51 offset:2048
	;; [unrolled: 1-line block ×5, first 2 shown]
	v_lshlrev_b32_e32 v2, 2, v37
	v_lshlrev_b32_e32 v3, 2, v39
	;; [unrolled: 1-line block ×5, first 2 shown]
	ds_store_b32 v2, v78 offset:2048
	ds_store_b32 v3, v82 offset:2048
	;; [unrolled: 1-line block ×5, first 2 shown]
	s_waitcnt lgkmcnt(0)
	s_barrier
	buffer_gl0_inv
	s_and_saveexec_b32 s26, s24
	s_cbranch_execz .LBB14_109
; %bb.100:
	v_lshl_or_b32 v4, s15, 8, v1
	v_mov_b32_e32 v5, 0
	v_mov_b32_e32 v13, 0
	s_mov_b32 s27, 0
	s_mov_b32 s28, s15
	s_delay_alu instid0(VALU_DEP_2) | instskip(SKIP_1) | instid1(VALU_DEP_2)
	v_lshlrev_b64 v[2:3], 2, v[4:5]
	v_or_b32_e32 v4, 2.0, v9
	v_add_co_u32 v2, s25, s68, v2
	s_delay_alu instid0(VALU_DEP_1)
	v_add_co_ci_u32_e64 v3, s25, s69, v3, s25
                                        ; implicit-def: $sgpr25
	global_store_b32 v[2:3], v4, off
	s_branch .LBB14_102
	.p2align	6
.LBB14_101:                             ;   in Loop: Header=BB14_102 Depth=1
	s_or_b32 exec_lo, exec_lo, s29
	v_and_b32_e32 v6, 0x3fffffff, v14
	v_cmp_eq_u32_e64 s25, 0x80000000, v4
	s_delay_alu instid0(VALU_DEP_2) | instskip(NEXT) | instid1(VALU_DEP_2)
	v_add_nc_u32_e32 v13, v6, v13
	s_and_b32 s29, exec_lo, s25
	s_delay_alu instid0(SALU_CYCLE_1) | instskip(NEXT) | instid1(SALU_CYCLE_1)
	s_or_b32 s27, s29, s27
	s_and_not1_b32 exec_lo, exec_lo, s27
	s_cbranch_execz .LBB14_108
.LBB14_102:                             ; =>This Loop Header: Depth=1
                                        ;     Child Loop BB14_105 Depth 2
	s_or_b32 s25, s25, exec_lo
	s_cmp_eq_u32 s28, 0
	s_cbranch_scc1 .LBB14_107
; %bb.103:                              ;   in Loop: Header=BB14_102 Depth=1
	s_add_i32 s28, s28, -1
	s_mov_b32 s29, exec_lo
	v_lshl_or_b32 v4, s28, 8, v1
	s_delay_alu instid0(VALU_DEP_1) | instskip(NEXT) | instid1(VALU_DEP_1)
	v_lshlrev_b64 v[6:7], 2, v[4:5]
	v_add_co_u32 v6, s25, s68, v6
	s_delay_alu instid0(VALU_DEP_1) | instskip(SKIP_3) | instid1(VALU_DEP_1)
	v_add_co_ci_u32_e64 v7, s25, s69, v7, s25
	global_load_b32 v14, v[6:7], off glc
	s_waitcnt vmcnt(0)
	v_and_b32_e32 v4, -2.0, v14
	v_cmpx_eq_u32_e32 0, v4
	s_cbranch_execz .LBB14_101
; %bb.104:                              ;   in Loop: Header=BB14_102 Depth=1
	s_mov_b32 s30, 0
.LBB14_105:                             ;   Parent Loop BB14_102 Depth=1
                                        ; =>  This Inner Loop Header: Depth=2
	global_load_b32 v14, v[6:7], off glc
	s_waitcnt vmcnt(0)
	v_and_b32_e32 v4, -2.0, v14
	s_delay_alu instid0(VALU_DEP_1) | instskip(NEXT) | instid1(VALU_DEP_1)
	v_cmp_ne_u32_e64 s25, 0, v4
	s_or_b32 s30, s25, s30
	s_delay_alu instid0(SALU_CYCLE_1)
	s_and_not1_b32 exec_lo, exec_lo, s30
	s_cbranch_execnz .LBB14_105
; %bb.106:                              ;   in Loop: Header=BB14_102 Depth=1
	s_or_b32 exec_lo, exec_lo, s30
	s_branch .LBB14_101
.LBB14_107:                             ;   in Loop: Header=BB14_102 Depth=1
                                        ; implicit-def: $sgpr28
	s_and_b32 s29, exec_lo, s25
	s_delay_alu instid0(SALU_CYCLE_1) | instskip(NEXT) | instid1(SALU_CYCLE_1)
	s_or_b32 s27, s29, s27
	s_and_not1_b32 exec_lo, exec_lo, s27
	s_cbranch_execnz .LBB14_102
.LBB14_108:
	s_or_b32 exec_lo, exec_lo, s27
	v_add_nc_u32_e32 v4, v13, v9
	v_lshlrev_b32_e32 v5, 3, v1
	s_delay_alu instid0(VALU_DEP_2) | instskip(SKIP_3) | instid1(VALU_DEP_1)
	v_or_b32_e32 v4, 0x80000000, v4
	global_store_b32 v[2:3], v4, off
	global_load_b64 v[2:3], v5, s[60:61]
	v_sub_co_u32 v4, s25, v13, v8
	v_sub_co_ci_u32_e64 v6, null, 0, 0, s25
	s_waitcnt vmcnt(0)
	s_delay_alu instid0(VALU_DEP_2) | instskip(NEXT) | instid1(VALU_DEP_1)
	v_add_co_u32 v2, s25, v4, v2
	v_add_co_ci_u32_e64 v3, s25, v6, v3, s25
	ds_store_b64 v5, v[2:3]
.LBB14_109:
	s_or_b32 exec_lo, exec_lo, s26
	v_cmp_gt_u32_e64 s25, s48, v1
	s_waitcnt lgkmcnt(0)
	s_waitcnt_vscnt null, 0x0
	s_barrier
	buffer_gl0_inv
	s_and_saveexec_b32 s27, s25
	s_cbranch_execz .LBB14_111
; %bb.110:
	ds_load_b32 v4, v12 offset:2048
	s_waitcnt lgkmcnt(0)
	v_lshrrev_b32_e32 v2, s64, v4
	v_xor_b32_e32 v4, 0x7fffffff, v4
	s_delay_alu instid0(VALU_DEP_2) | instskip(NEXT) | instid1(VALU_DEP_1)
	v_and_b32_e32 v2, s51, v2
	v_lshlrev_b32_e32 v2, 3, v2
	ds_load_b64 v[2:3], v2
	s_waitcnt lgkmcnt(0)
	v_lshlrev_b64 v[2:3], 2, v[2:3]
	s_delay_alu instid0(VALU_DEP_1) | instskip(NEXT) | instid1(VALU_DEP_1)
	v_add_co_u32 v2, s26, s54, v2
	v_add_co_ci_u32_e64 v3, s26, s55, v3, s26
	s_delay_alu instid0(VALU_DEP_2) | instskip(NEXT) | instid1(VALU_DEP_1)
	v_add_co_u32 v2, s26, v2, v12
	v_add_co_ci_u32_e64 v3, s26, 0, v3, s26
	global_store_b32 v[2:3], v4, off
.LBB14_111:
	s_or_b32 exec_lo, exec_lo, s27
	v_add_nc_u32_e32 v2, 0x200, v1
	s_delay_alu instid0(VALU_DEP_1) | instskip(NEXT) | instid1(VALU_DEP_1)
	v_cmp_gt_u32_e64 s26, s48, v2
	s_and_saveexec_b32 s28, s26
	s_cbranch_execz .LBB14_113
; %bb.112:
	ds_load_b32 v4, v12 offset:4096
	s_waitcnt lgkmcnt(0)
	v_lshrrev_b32_e32 v2, s64, v4
	v_xor_b32_e32 v4, 0x7fffffff, v4
	s_delay_alu instid0(VALU_DEP_2) | instskip(NEXT) | instid1(VALU_DEP_1)
	v_and_b32_e32 v2, s51, v2
	v_lshlrev_b32_e32 v2, 3, v2
	ds_load_b64 v[2:3], v2
	s_waitcnt lgkmcnt(0)
	v_lshlrev_b64 v[2:3], 2, v[2:3]
	s_delay_alu instid0(VALU_DEP_1) | instskip(NEXT) | instid1(VALU_DEP_1)
	v_add_co_u32 v2, s27, s54, v2
	v_add_co_ci_u32_e64 v3, s27, s55, v3, s27
	s_delay_alu instid0(VALU_DEP_2) | instskip(NEXT) | instid1(VALU_DEP_1)
	v_add_co_u32 v2, s27, v2, v12
	v_add_co_ci_u32_e64 v3, s27, 0, v3, s27
	global_store_b32 v[2:3], v4, off offset:2048
.LBB14_113:
	s_or_b32 exec_lo, exec_lo, s28
	v_or_b32_e32 v2, 0x400, v1
	s_delay_alu instid0(VALU_DEP_1) | instskip(NEXT) | instid1(VALU_DEP_1)
	v_cmp_gt_u32_e64 s27, s48, v2
	s_and_saveexec_b32 s29, s27
	s_cbranch_execz .LBB14_115
; %bb.114:
	ds_load_b32 v5, v12 offset:6144
	v_lshlrev_b32_e32 v2, 2, v2
	s_waitcnt lgkmcnt(0)
	v_lshrrev_b32_e32 v3, s64, v5
	v_xor_b32_e32 v5, 0x7fffffff, v5
	s_delay_alu instid0(VALU_DEP_2) | instskip(NEXT) | instid1(VALU_DEP_1)
	v_and_b32_e32 v3, s51, v3
	v_lshlrev_b32_e32 v3, 3, v3
	ds_load_b64 v[3:4], v3
	s_waitcnt lgkmcnt(0)
	v_lshlrev_b64 v[3:4], 2, v[3:4]
	s_delay_alu instid0(VALU_DEP_1) | instskip(NEXT) | instid1(VALU_DEP_1)
	v_add_co_u32 v3, s28, s54, v3
	v_add_co_ci_u32_e64 v4, s28, s55, v4, s28
	s_delay_alu instid0(VALU_DEP_2) | instskip(NEXT) | instid1(VALU_DEP_1)
	v_add_co_u32 v2, s28, v3, v2
	v_add_co_ci_u32_e64 v3, s28, 0, v4, s28
	global_store_b32 v[2:3], v5, off
.LBB14_115:
	s_or_b32 exec_lo, exec_lo, s29
	v_add_nc_u32_e32 v2, 0x600, v1
	s_delay_alu instid0(VALU_DEP_1) | instskip(NEXT) | instid1(VALU_DEP_1)
	v_cmp_gt_u32_e64 s28, s48, v2
	s_and_saveexec_b32 s30, s28
	s_cbranch_execz .LBB14_117
; %bb.116:
	ds_load_b32 v5, v12 offset:8192
	v_lshlrev_b32_e32 v2, 2, v2
	s_waitcnt lgkmcnt(0)
	v_lshrrev_b32_e32 v3, s64, v5
	v_xor_b32_e32 v5, 0x7fffffff, v5
	s_delay_alu instid0(VALU_DEP_2) | instskip(NEXT) | instid1(VALU_DEP_1)
	v_and_b32_e32 v3, s51, v3
	v_lshlrev_b32_e32 v3, 3, v3
	ds_load_b64 v[3:4], v3
	s_waitcnt lgkmcnt(0)
	v_lshlrev_b64 v[3:4], 2, v[3:4]
	s_delay_alu instid0(VALU_DEP_1) | instskip(NEXT) | instid1(VALU_DEP_1)
	v_add_co_u32 v3, s29, s54, v3
	v_add_co_ci_u32_e64 v4, s29, s55, v4, s29
	s_delay_alu instid0(VALU_DEP_2) | instskip(NEXT) | instid1(VALU_DEP_1)
	v_add_co_u32 v2, s29, v3, v2
	v_add_co_ci_u32_e64 v3, s29, 0, v4, s29
	global_store_b32 v[2:3], v5, off
.LBB14_117:
	s_or_b32 exec_lo, exec_lo, s30
	v_or_b32_e32 v2, 0x800, v1
	s_delay_alu instid0(VALU_DEP_1) | instskip(NEXT) | instid1(VALU_DEP_1)
	v_cmp_gt_u32_e64 s29, s48, v2
	s_and_saveexec_b32 s31, s29
	s_cbranch_execz .LBB14_119
; %bb.118:
	ds_load_b32 v5, v12 offset:10240
	v_lshlrev_b32_e32 v2, 2, v2
	s_waitcnt lgkmcnt(0)
	v_lshrrev_b32_e32 v3, s64, v5
	v_xor_b32_e32 v5, 0x7fffffff, v5
	s_delay_alu instid0(VALU_DEP_2) | instskip(NEXT) | instid1(VALU_DEP_1)
	v_and_b32_e32 v3, s51, v3
	v_lshlrev_b32_e32 v3, 3, v3
	ds_load_b64 v[3:4], v3
	s_waitcnt lgkmcnt(0)
	v_lshlrev_b64 v[3:4], 2, v[3:4]
	s_delay_alu instid0(VALU_DEP_1) | instskip(NEXT) | instid1(VALU_DEP_1)
	v_add_co_u32 v3, s30, s54, v3
	v_add_co_ci_u32_e64 v4, s30, s55, v4, s30
	s_delay_alu instid0(VALU_DEP_2) | instskip(NEXT) | instid1(VALU_DEP_1)
	v_add_co_u32 v2, s30, v3, v2
	v_add_co_ci_u32_e64 v3, s30, 0, v4, s30
	global_store_b32 v[2:3], v5, off
.LBB14_119:
	s_or_b32 exec_lo, exec_lo, s31
	v_add_nc_u32_e32 v2, 0xa00, v1
	s_delay_alu instid0(VALU_DEP_1) | instskip(NEXT) | instid1(VALU_DEP_1)
	v_cmp_gt_u32_e64 s30, s48, v2
	s_and_saveexec_b32 s33, s30
	s_cbranch_execz .LBB14_121
; %bb.120:
	ds_load_b32 v5, v12 offset:12288
	v_lshlrev_b32_e32 v2, 2, v2
	s_waitcnt lgkmcnt(0)
	v_lshrrev_b32_e32 v3, s64, v5
	v_xor_b32_e32 v5, 0x7fffffff, v5
	s_delay_alu instid0(VALU_DEP_2) | instskip(NEXT) | instid1(VALU_DEP_1)
	v_and_b32_e32 v3, s51, v3
	v_lshlrev_b32_e32 v3, 3, v3
	ds_load_b64 v[3:4], v3
	s_waitcnt lgkmcnt(0)
	v_lshlrev_b64 v[3:4], 2, v[3:4]
	s_delay_alu instid0(VALU_DEP_1) | instskip(NEXT) | instid1(VALU_DEP_1)
	v_add_co_u32 v3, s31, s54, v3
	v_add_co_ci_u32_e64 v4, s31, s55, v4, s31
	s_delay_alu instid0(VALU_DEP_2) | instskip(NEXT) | instid1(VALU_DEP_1)
	v_add_co_u32 v2, s31, v3, v2
	v_add_co_ci_u32_e64 v3, s31, 0, v4, s31
	global_store_b32 v[2:3], v5, off
.LBB14_121:
	;; [unrolled: 52-line block ×10, first 2 shown]
	s_or_b32 exec_lo, exec_lo, s66
	s_add_u32 s48, s56, s50
	s_addc_u32 s66, s57, 0
	v_add_co_u32 v2, s48, s48, v11
	s_delay_alu instid0(VALU_DEP_1) | instskip(NEXT) | instid1(VALU_DEP_2)
	v_add_co_ci_u32_e64 v3, null, s66, 0, s48
	v_add_co_u32 v2, s48, v2, v10
	s_delay_alu instid0(VALU_DEP_1) | instskip(SKIP_1) | instid1(SALU_CYCLE_1)
	v_add_co_ci_u32_e64 v3, s48, 0, v3, s48
                                        ; implicit-def: $vgpr10
	s_and_saveexec_b32 s48, vcc_lo
	s_xor_b32 s48, exec_lo, s48
	s_cbranch_execnz .LBB14_297
; %bb.154:
	s_or_b32 exec_lo, exec_lo, s48
                                        ; implicit-def: $vgpr45
	s_and_saveexec_b32 s48, s2
	s_cbranch_execnz .LBB14_298
.LBB14_155:
	s_or_b32 exec_lo, exec_lo, s48
                                        ; implicit-def: $vgpr46
	s_and_saveexec_b32 s2, s3
	s_cbranch_execnz .LBB14_299
.LBB14_156:
	s_or_b32 exec_lo, exec_lo, s2
                                        ; implicit-def: $vgpr47
	s_and_saveexec_b32 s2, s4
	s_cbranch_execnz .LBB14_300
.LBB14_157:
	s_or_b32 exec_lo, exec_lo, s2
                                        ; implicit-def: $vgpr48
	s_and_saveexec_b32 s2, s5
	s_cbranch_execnz .LBB14_301
.LBB14_158:
	s_or_b32 exec_lo, exec_lo, s2
                                        ; implicit-def: $vgpr49
	s_and_saveexec_b32 s2, s6
	s_cbranch_execnz .LBB14_302
.LBB14_159:
	s_or_b32 exec_lo, exec_lo, s2
                                        ; implicit-def: $vgpr50
	s_and_saveexec_b32 s2, s7
	s_cbranch_execnz .LBB14_303
.LBB14_160:
	s_or_b32 exec_lo, exec_lo, s2
                                        ; implicit-def: $vgpr51
	s_and_saveexec_b32 s2, s8
	s_cbranch_execnz .LBB14_304
.LBB14_161:
	s_or_b32 exec_lo, exec_lo, s2
                                        ; implicit-def: $vgpr52
	s_and_saveexec_b32 s2, s9
	s_cbranch_execnz .LBB14_305
.LBB14_162:
	s_or_b32 exec_lo, exec_lo, s2
                                        ; implicit-def: $vgpr53
	s_and_saveexec_b32 s2, s10
	s_cbranch_execnz .LBB14_306
.LBB14_163:
	s_or_b32 exec_lo, exec_lo, s2
                                        ; implicit-def: $vgpr54
	s_and_saveexec_b32 s2, s11
	s_cbranch_execnz .LBB14_307
.LBB14_164:
	s_or_b32 exec_lo, exec_lo, s2
                                        ; implicit-def: $vgpr55
	s_and_saveexec_b32 s2, s12
	s_cbranch_execnz .LBB14_308
.LBB14_165:
	s_or_b32 exec_lo, exec_lo, s2
                                        ; implicit-def: $vgpr56
	s_and_saveexec_b32 s2, s13
	s_cbranch_execnz .LBB14_309
.LBB14_166:
	s_or_b32 exec_lo, exec_lo, s2
                                        ; implicit-def: $vgpr58
	s_and_saveexec_b32 s2, s14
	s_cbranch_execnz .LBB14_310
.LBB14_167:
	s_or_b32 exec_lo, exec_lo, s2
                                        ; implicit-def: $vgpr61
	s_and_saveexec_b32 s2, s16
	s_cbranch_execnz .LBB14_311
.LBB14_168:
	s_or_b32 exec_lo, exec_lo, s2
                                        ; implicit-def: $vgpr65
	s_and_saveexec_b32 s2, s17
	s_cbranch_execnz .LBB14_312
.LBB14_169:
	s_or_b32 exec_lo, exec_lo, s2
                                        ; implicit-def: $vgpr68
	s_and_saveexec_b32 s2, s18
	s_cbranch_execnz .LBB14_313
.LBB14_170:
	s_or_b32 exec_lo, exec_lo, s2
                                        ; implicit-def: $vgpr71
	s_and_saveexec_b32 s2, s19
	s_cbranch_execnz .LBB14_314
.LBB14_171:
	s_or_b32 exec_lo, exec_lo, s2
                                        ; implicit-def: $vgpr74
	s_and_saveexec_b32 s2, s20
	s_cbranch_execnz .LBB14_315
.LBB14_172:
	s_or_b32 exec_lo, exec_lo, s2
                                        ; implicit-def: $vgpr77
	s_and_saveexec_b32 s2, s21
	s_cbranch_execnz .LBB14_316
.LBB14_173:
	s_or_b32 exec_lo, exec_lo, s2
                                        ; implicit-def: $vgpr81
	s_and_saveexec_b32 s2, s22
	s_cbranch_execnz .LBB14_317
.LBB14_174:
	s_or_b32 exec_lo, exec_lo, s2
                                        ; implicit-def: $vgpr84
	s_and_saveexec_b32 s2, s23
	s_cbranch_execnz .LBB14_318
.LBB14_175:
	s_or_b32 exec_lo, exec_lo, s2
                                        ; implicit-def: $vgpr85
	s_and_saveexec_b32 s2, s25
	s_cbranch_execnz .LBB14_319
.LBB14_176:
	s_or_b32 exec_lo, exec_lo, s2
                                        ; implicit-def: $vgpr83
	s_and_saveexec_b32 s2, s26
	s_cbranch_execnz .LBB14_320
.LBB14_177:
	s_or_b32 exec_lo, exec_lo, s2
                                        ; implicit-def: $vgpr82
	s_and_saveexec_b32 s2, s27
	s_cbranch_execnz .LBB14_321
.LBB14_178:
	s_or_b32 exec_lo, exec_lo, s2
                                        ; implicit-def: $vgpr80
	s_and_saveexec_b32 s2, s28
	s_cbranch_execnz .LBB14_322
.LBB14_179:
	s_or_b32 exec_lo, exec_lo, s2
                                        ; implicit-def: $vgpr79
	s_and_saveexec_b32 s2, s29
	s_cbranch_execnz .LBB14_323
.LBB14_180:
	s_or_b32 exec_lo, exec_lo, s2
                                        ; implicit-def: $vgpr78
	s_and_saveexec_b32 s2, s30
	s_cbranch_execnz .LBB14_324
.LBB14_181:
	s_or_b32 exec_lo, exec_lo, s2
                                        ; implicit-def: $vgpr76
	s_and_saveexec_b32 s2, s31
	s_cbranch_execnz .LBB14_325
.LBB14_182:
	s_or_b32 exec_lo, exec_lo, s2
                                        ; implicit-def: $vgpr75
	s_and_saveexec_b32 s2, s33
	s_cbranch_execnz .LBB14_326
.LBB14_183:
	s_or_b32 exec_lo, exec_lo, s2
                                        ; implicit-def: $vgpr73
	s_and_saveexec_b32 s2, s34
	s_cbranch_execnz .LBB14_327
.LBB14_184:
	s_or_b32 exec_lo, exec_lo, s2
                                        ; implicit-def: $vgpr72
	s_and_saveexec_b32 s2, s35
	s_cbranch_execnz .LBB14_328
.LBB14_185:
	s_or_b32 exec_lo, exec_lo, s2
                                        ; implicit-def: $vgpr70
	s_and_saveexec_b32 s2, s36
	s_cbranch_execnz .LBB14_329
.LBB14_186:
	s_or_b32 exec_lo, exec_lo, s2
                                        ; implicit-def: $vgpr69
	s_and_saveexec_b32 s2, s37
	s_cbranch_execnz .LBB14_330
.LBB14_187:
	s_or_b32 exec_lo, exec_lo, s2
                                        ; implicit-def: $vgpr67
	s_and_saveexec_b32 s2, s38
	s_cbranch_execnz .LBB14_331
.LBB14_188:
	s_or_b32 exec_lo, exec_lo, s2
                                        ; implicit-def: $vgpr66
	s_and_saveexec_b32 s2, s39
	s_cbranch_execnz .LBB14_332
.LBB14_189:
	s_or_b32 exec_lo, exec_lo, s2
                                        ; implicit-def: $vgpr64
	s_and_saveexec_b32 s2, s40
	s_cbranch_execnz .LBB14_333
.LBB14_190:
	s_or_b32 exec_lo, exec_lo, s2
                                        ; implicit-def: $vgpr63
	s_and_saveexec_b32 s2, s41
	s_cbranch_execnz .LBB14_334
.LBB14_191:
	s_or_b32 exec_lo, exec_lo, s2
                                        ; implicit-def: $vgpr62
	s_and_saveexec_b32 s2, s42
	s_cbranch_execnz .LBB14_335
.LBB14_192:
	s_or_b32 exec_lo, exec_lo, s2
                                        ; implicit-def: $vgpr60
	s_and_saveexec_b32 s2, s43
	s_cbranch_execnz .LBB14_336
.LBB14_193:
	s_or_b32 exec_lo, exec_lo, s2
                                        ; implicit-def: $vgpr59
	s_and_saveexec_b32 s2, s44
	s_cbranch_execnz .LBB14_337
.LBB14_194:
	s_or_b32 exec_lo, exec_lo, s2
                                        ; implicit-def: $vgpr57
	s_and_saveexec_b32 s2, s45
	s_cbranch_execnz .LBB14_338
.LBB14_195:
	s_or_b32 exec_lo, exec_lo, s2
                                        ; implicit-def: $vgpr3
	s_and_saveexec_b32 s2, s46
	s_cbranch_execnz .LBB14_339
.LBB14_196:
	s_or_b32 exec_lo, exec_lo, s2
                                        ; implicit-def: $vgpr2
	s_and_saveexec_b32 s2, s47
	s_cbranch_execz .LBB14_198
.LBB14_197:
	ds_load_b32 v2, v12 offset:45056
	s_waitcnt lgkmcnt(0)
	v_lshrrev_b32_e32 v2, s64, v2
	s_delay_alu instid0(VALU_DEP_1)
	v_and_b32_e32 v2, s51, v2
.LBB14_198:
	s_or_b32 exec_lo, exec_lo, s2
	s_waitcnt vmcnt(0)
	s_waitcnt_vscnt null, 0x0
	s_barrier
	buffer_gl0_inv
	ds_store_b8 v15, v10 offset:2048
	ds_store_b8 v16, v45 offset:2048
	;; [unrolled: 1-line block ×22, first 2 shown]
	s_waitcnt lgkmcnt(0)
	s_barrier
	buffer_gl0_inv
	s_and_saveexec_b32 s2, s25
	s_cbranch_execnz .LBB14_340
; %bb.199:
	s_or_b32 exec_lo, exec_lo, s2
	s_and_saveexec_b32 s2, s26
	s_cbranch_execnz .LBB14_341
.LBB14_200:
	s_or_b32 exec_lo, exec_lo, s2
	s_and_saveexec_b32 s2, s27
	s_cbranch_execnz .LBB14_342
.LBB14_201:
	s_or_b32 exec_lo, exec_lo, s2
	s_and_saveexec_b32 s2, s28
	s_cbranch_execnz .LBB14_343
.LBB14_202:
	s_or_b32 exec_lo, exec_lo, s2
	s_and_saveexec_b32 s2, s29
	s_cbranch_execnz .LBB14_344
.LBB14_203:
	s_or_b32 exec_lo, exec_lo, s2
	s_and_saveexec_b32 s2, s30
	s_cbranch_execnz .LBB14_345
.LBB14_204:
	s_or_b32 exec_lo, exec_lo, s2
	s_and_saveexec_b32 s2, s31
	s_cbranch_execnz .LBB14_346
.LBB14_205:
	s_or_b32 exec_lo, exec_lo, s2
	s_and_saveexec_b32 s2, s33
	s_cbranch_execnz .LBB14_347
.LBB14_206:
	s_or_b32 exec_lo, exec_lo, s2
	s_and_saveexec_b32 s2, s34
	s_cbranch_execnz .LBB14_348
.LBB14_207:
	s_or_b32 exec_lo, exec_lo, s2
	s_and_saveexec_b32 s2, s35
	s_cbranch_execnz .LBB14_349
.LBB14_208:
	s_or_b32 exec_lo, exec_lo, s2
	s_and_saveexec_b32 s2, s36
	s_cbranch_execnz .LBB14_350
.LBB14_209:
	s_or_b32 exec_lo, exec_lo, s2
	s_and_saveexec_b32 s2, s37
	s_cbranch_execnz .LBB14_351
.LBB14_210:
	s_or_b32 exec_lo, exec_lo, s2
	s_and_saveexec_b32 s2, s38
	s_cbranch_execnz .LBB14_352
.LBB14_211:
	s_or_b32 exec_lo, exec_lo, s2
	s_and_saveexec_b32 s2, s39
	s_cbranch_execnz .LBB14_353
.LBB14_212:
	s_or_b32 exec_lo, exec_lo, s2
	s_and_saveexec_b32 s2, s40
	s_cbranch_execnz .LBB14_354
.LBB14_213:
	s_or_b32 exec_lo, exec_lo, s2
	s_and_saveexec_b32 s2, s41
	s_cbranch_execnz .LBB14_355
.LBB14_214:
	s_or_b32 exec_lo, exec_lo, s2
	s_and_saveexec_b32 s2, s42
	s_cbranch_execnz .LBB14_356
.LBB14_215:
	s_or_b32 exec_lo, exec_lo, s2
	s_and_saveexec_b32 s2, s43
	s_cbranch_execnz .LBB14_357
.LBB14_216:
	s_or_b32 exec_lo, exec_lo, s2
	s_and_saveexec_b32 s2, s44
	s_cbranch_execnz .LBB14_358
.LBB14_217:
	s_or_b32 exec_lo, exec_lo, s2
	s_and_saveexec_b32 s2, s45
	s_cbranch_execnz .LBB14_359
.LBB14_218:
	s_or_b32 exec_lo, exec_lo, s2
	s_and_saveexec_b32 s2, s46
	s_cbranch_execnz .LBB14_360
.LBB14_219:
	s_or_b32 exec_lo, exec_lo, s2
	s_and_saveexec_b32 s2, s47
	s_cbranch_execz .LBB14_221
.LBB14_220:
	v_lshlrev_b32_e32 v2, 3, v2
	ds_load_b64 v[2:3], v2
	ds_load_u8 v4, v1 offset:12800
	s_waitcnt lgkmcnt(1)
	v_add_co_u32 v2, vcc_lo, s58, v2
	v_add_co_ci_u32_e32 v3, vcc_lo, s59, v3, vcc_lo
	s_delay_alu instid0(VALU_DEP_2) | instskip(NEXT) | instid1(VALU_DEP_2)
	v_add_co_u32 v2, vcc_lo, v2, v44
	v_add_co_ci_u32_e32 v3, vcc_lo, 0, v3, vcc_lo
	s_waitcnt lgkmcnt(0)
	global_store_b8 v[2:3], v4, off
.LBB14_221:
	s_or_b32 exec_lo, exec_lo, s2
	s_add_i32 s49, s49, -1
	s_mov_b32 s2, 0
	s_cmp_eq_u32 s15, s49
	s_mov_b32 s4, 0
	s_cselect_b32 s3, -1, 0
                                        ; implicit-def: $vgpr5_vgpr6
	s_delay_alu instid0(SALU_CYCLE_1) | instskip(NEXT) | instid1(SALU_CYCLE_1)
	s_and_b32 s3, s24, s3
	s_and_saveexec_b32 s5, s3
	s_delay_alu instid0(SALU_CYCLE_1)
	s_xor_b32 s3, exec_lo, s5
; %bb.222:
	v_add_co_u32 v5, s5, v8, v9
	v_mov_b32_e32 v2, 0
	v_add_co_ci_u32_e64 v6, null, 0, 0, s5
	s_mov_b32 s4, exec_lo
; %bb.223:
	s_or_b32 exec_lo, exec_lo, s3
	s_delay_alu instid0(SALU_CYCLE_1)
	s_and_b32 vcc_lo, exec_lo, s2
	s_cbranch_vccnz .LBB14_225
	s_branch .LBB14_294
.LBB14_224:
	s_mov_b32 s4, 0
                                        ; implicit-def: $vgpr5_vgpr6
	s_cbranch_execz .LBB14_294
.LBB14_225:
	v_dual_mov_b32 v16, 0 :: v_dual_and_b32 v13, 0x1e0, v1
	s_mov_b32 s51, 0
	v_lshlrev_b32_e32 v2, 2, v11
	s_lshl_b64 s[2:3], s[50:51], 2
	s_delay_alu instid0(VALU_DEP_2) | instskip(SKIP_3) | instid1(VALU_DEP_2)
	v_mul_u32_u24_e32 v12, 22, v13
	s_add_u32 s2, s52, s2
	s_addc_u32 s3, s53, s3
	v_add_co_u32 v2, s2, s2, v2
	v_lshlrev_b32_e32 v3, 2, v12
	v_add_co_ci_u32_e64 v4, null, s3, 0, s2
	v_bfe_u32 v15, v0, 10, 10
	v_bfe_u32 v0, v0, 20, 10
	s_delay_alu instid0(VALU_DEP_4) | instskip(NEXT) | instid1(VALU_DEP_4)
	v_add_co_u32 v2, vcc_lo, v2, v3
	v_add_co_ci_u32_e32 v3, vcc_lo, 0, v4, vcc_lo
	global_load_b32 v10, v[2:3], off
	s_clause 0x1
	s_load_b32 s2, s[0:1], 0x5c
	s_load_b32 s5, s[0:1], 0x50
	s_add_u32 s0, s0, 0x50
	s_addc_u32 s1, s1, 0
	s_waitcnt lgkmcnt(0)
	s_lshr_b32 s2, s2, 16
	s_cmp_lt_u32 s15, s5
	v_mad_u32_u24 v0, v0, s2, v15
	s_cselect_b32 s3, 12, 18
	s_delay_alu instid0(SALU_CYCLE_1)
	s_add_u32 s0, s0, s3
	s_addc_u32 s1, s1, 0
	global_load_u16 v14, v16, s[0:1]
	s_clause 0x14
	global_load_b32 v18, v[2:3], off offset:128
	global_load_b32 v17, v[2:3], off offset:256
	;; [unrolled: 1-line block ×21, first 2 shown]
	s_lshl_b32 s0, -1, s65
	s_delay_alu instid0(SALU_CYCLE_1) | instskip(SKIP_2) | instid1(VALU_DEP_1)
	s_not_b32 s6, s0
	s_waitcnt vmcnt(22)
	v_xor_b32_e32 v10, 0x7fffffff, v10
	v_lshrrev_b32_e32 v3, s64, v10
	s_delay_alu instid0(VALU_DEP_1) | instskip(NEXT) | instid1(VALU_DEP_1)
	v_and_b32_e32 v3, s6, v3
	v_and_b32_e32 v19, 1, v3
	v_lshlrev_b32_e32 v20, 30, v3
	v_lshlrev_b32_e32 v22, 29, v3
	;; [unrolled: 1-line block ×4, first 2 shown]
	v_add_co_u32 v19, s0, v19, -1
	s_delay_alu instid0(VALU_DEP_1)
	v_cndmask_b32_e64 v24, 0, 1, s0
	v_not_b32_e32 v30, v20
	v_cmp_gt_i32_e64 s0, 0, v20
	v_not_b32_e32 v20, v22
	v_lshlrev_b32_e32 v27, 26, v3
	v_cmp_ne_u32_e32 vcc_lo, 0, v24
	v_ashrrev_i32_e32 v30, 31, v30
	v_lshlrev_b32_e32 v28, 25, v3
	v_ashrrev_i32_e32 v20, 31, v20
	v_lshlrev_b32_e32 v24, 24, v3
	v_xor_b32_e32 v19, vcc_lo, v19
	v_cmp_gt_i32_e32 vcc_lo, 0, v22
	v_not_b32_e32 v22, v23
	v_xor_b32_e32 v30, s0, v30
	v_cmp_gt_i32_e64 s0, 0, v23
	v_and_b32_e32 v19, exec_lo, v19
	v_not_b32_e32 v23, v26
	v_ashrrev_i32_e32 v22, 31, v22
	v_xor_b32_e32 v20, vcc_lo, v20
	v_cmp_gt_i32_e32 vcc_lo, 0, v26
	v_and_b32_e32 v19, v19, v30
	v_not_b32_e32 v26, v27
	v_ashrrev_i32_e32 v23, 31, v23
	v_xor_b32_e32 v22, s0, v22
	v_cmp_gt_i32_e64 s0, 0, v27
	v_and_b32_e32 v19, v19, v20
	v_not_b32_e32 v20, v28
	v_ashrrev_i32_e32 v26, 31, v26
	v_xor_b32_e32 v23, vcc_lo, v23
	v_cmp_gt_i32_e32 vcc_lo, 0, v28
	v_and_b32_e32 v19, v19, v22
	v_not_b32_e32 v22, v24
	v_ashrrev_i32_e32 v20, 31, v20
	v_xor_b32_e32 v26, s0, v26
	v_cmp_gt_i32_e64 s0, 0, v24
	v_and_b32_e32 v19, v19, v23
	v_ashrrev_i32_e32 v22, 31, v22
	v_xor_b32_e32 v20, vcc_lo, v20
	v_mul_u32_u24_e32 v23, 9, v1
	s_delay_alu instid0(VALU_DEP_4) | instskip(NEXT) | instid1(VALU_DEP_4)
	v_and_b32_e32 v19, v19, v26
	v_xor_b32_e32 v22, s0, v22
	s_delay_alu instid0(VALU_DEP_3)
	v_lshlrev_b32_e32 v15, 2, v23
	ds_store_2addr_b32 v15, v16, v16 offset0:16 offset1:17
	ds_store_2addr_b32 v15, v16, v16 offset0:18 offset1:19
	;; [unrolled: 1-line block ×4, first 2 shown]
	v_and_b32_e32 v24, v19, v20
	s_waitcnt vmcnt(0)
	v_mad_u64_u32 v[19:20], null, v0, v14, v[1:2]
	ds_store_b32 v15, v16 offset:96
	v_lshl_add_u32 v16, v3, 4, v3
	v_and_b32_e32 v0, v24, v22
	s_waitcnt lgkmcnt(0)
	s_waitcnt_vscnt null, 0x0
	s_barrier
	buffer_gl0_inv
	v_lshrrev_b32_e32 v3, 5, v19
	v_mbcnt_lo_u32_b32 v14, v0, 0
	v_cmp_ne_u32_e64 s0, 0, v0
	; wave barrier
	s_delay_alu instid0(VALU_DEP_3) | instskip(NEXT) | instid1(VALU_DEP_3)
	v_add_lshl_u32 v16, v3, v16, 2
	v_cmp_eq_u32_e32 vcc_lo, 0, v14
	s_delay_alu instid0(VALU_DEP_3) | instskip(NEXT) | instid1(SALU_CYCLE_1)
	s_and_b32 s1, s0, vcc_lo
	s_and_saveexec_b32 s0, s1
	s_cbranch_execz .LBB14_227
; %bb.226:
	v_bcnt_u32_b32 v0, v0, 0
	ds_store_b32 v16, v0 offset:64
.LBB14_227:
	s_or_b32 exec_lo, exec_lo, s0
	v_xor_b32_e32 v0, 0x7fffffff, v18
	; wave barrier
	s_delay_alu instid0(VALU_DEP_1) | instskip(NEXT) | instid1(VALU_DEP_1)
	v_lshrrev_b32_e32 v18, s64, v0
	v_and_b32_e32 v18, s6, v18
	s_delay_alu instid0(VALU_DEP_1)
	v_and_b32_e32 v19, 1, v18
	v_lshlrev_b32_e32 v20, 30, v18
	v_lshlrev_b32_e32 v22, 29, v18
	;; [unrolled: 1-line block ×4, first 2 shown]
	v_add_co_u32 v19, s0, v19, -1
	s_delay_alu instid0(VALU_DEP_1)
	v_cndmask_b32_e64 v24, 0, 1, s0
	v_not_b32_e32 v30, v20
	v_cmp_gt_i32_e64 s0, 0, v20
	v_not_b32_e32 v20, v22
	v_lshlrev_b32_e32 v27, 26, v18
	v_cmp_ne_u32_e32 vcc_lo, 0, v24
	v_ashrrev_i32_e32 v30, 31, v30
	v_lshlrev_b32_e32 v28, 25, v18
	v_ashrrev_i32_e32 v20, 31, v20
	v_lshlrev_b32_e32 v24, 24, v18
	v_xor_b32_e32 v19, vcc_lo, v19
	v_cmp_gt_i32_e32 vcc_lo, 0, v22
	v_not_b32_e32 v22, v23
	v_xor_b32_e32 v30, s0, v30
	v_cmp_gt_i32_e64 s0, 0, v23
	v_and_b32_e32 v19, exec_lo, v19
	v_not_b32_e32 v23, v26
	v_ashrrev_i32_e32 v22, 31, v22
	v_xor_b32_e32 v20, vcc_lo, v20
	v_cmp_gt_i32_e32 vcc_lo, 0, v26
	v_and_b32_e32 v19, v19, v30
	v_not_b32_e32 v26, v27
	v_ashrrev_i32_e32 v23, 31, v23
	v_xor_b32_e32 v22, s0, v22
	v_cmp_gt_i32_e64 s0, 0, v27
	v_and_b32_e32 v19, v19, v20
	v_not_b32_e32 v20, v28
	v_ashrrev_i32_e32 v26, 31, v26
	v_xor_b32_e32 v23, vcc_lo, v23
	v_cmp_gt_i32_e32 vcc_lo, 0, v28
	v_and_b32_e32 v19, v19, v22
	v_not_b32_e32 v22, v24
	v_ashrrev_i32_e32 v20, 31, v20
	v_xor_b32_e32 v26, s0, v26
	v_lshl_add_u32 v18, v18, 4, v18
	v_and_b32_e32 v19, v19, v23
	v_cmp_gt_i32_e64 s0, 0, v24
	v_ashrrev_i32_e32 v22, 31, v22
	v_xor_b32_e32 v23, vcc_lo, v20
	v_add_lshl_u32 v20, v3, v18, 2
	v_and_b32_e32 v19, v19, v26
	s_delay_alu instid0(VALU_DEP_4) | instskip(SKIP_2) | instid1(VALU_DEP_1)
	v_xor_b32_e32 v22, s0, v22
	ds_load_b32 v18, v20 offset:64
	v_and_b32_e32 v19, v19, v23
	; wave barrier
	v_and_b32_e32 v22, v19, v22
	s_delay_alu instid0(VALU_DEP_1) | instskip(SKIP_1) | instid1(VALU_DEP_2)
	v_mbcnt_lo_u32_b32 v19, v22, 0
	v_cmp_ne_u32_e64 s0, 0, v22
	v_cmp_eq_u32_e32 vcc_lo, 0, v19
	s_delay_alu instid0(VALU_DEP_2) | instskip(NEXT) | instid1(SALU_CYCLE_1)
	s_and_b32 s1, s0, vcc_lo
	s_and_saveexec_b32 s0, s1
	s_cbranch_execz .LBB14_229
; %bb.228:
	s_waitcnt lgkmcnt(0)
	v_bcnt_u32_b32 v22, v22, v18
	ds_store_b32 v20, v22 offset:64
.LBB14_229:
	s_or_b32 exec_lo, exec_lo, s0
	v_xor_b32_e32 v17, 0x7fffffff, v17
	; wave barrier
	s_delay_alu instid0(VALU_DEP_1) | instskip(NEXT) | instid1(VALU_DEP_1)
	v_lshrrev_b32_e32 v22, s64, v17
	v_and_b32_e32 v22, s6, v22
	s_delay_alu instid0(VALU_DEP_1)
	v_and_b32_e32 v23, 1, v22
	v_lshlrev_b32_e32 v24, 30, v22
	v_lshlrev_b32_e32 v26, 29, v22
	;; [unrolled: 1-line block ×4, first 2 shown]
	v_add_co_u32 v23, s0, v23, -1
	s_delay_alu instid0(VALU_DEP_1)
	v_cndmask_b32_e64 v28, 0, 1, s0
	v_not_b32_e32 v34, v24
	v_cmp_gt_i32_e64 s0, 0, v24
	v_not_b32_e32 v24, v26
	v_lshlrev_b32_e32 v31, 26, v22
	v_cmp_ne_u32_e32 vcc_lo, 0, v28
	v_ashrrev_i32_e32 v34, 31, v34
	v_lshlrev_b32_e32 v32, 25, v22
	v_ashrrev_i32_e32 v24, 31, v24
	v_lshlrev_b32_e32 v28, 24, v22
	v_xor_b32_e32 v23, vcc_lo, v23
	v_cmp_gt_i32_e32 vcc_lo, 0, v26
	v_not_b32_e32 v26, v27
	v_xor_b32_e32 v34, s0, v34
	v_cmp_gt_i32_e64 s0, 0, v27
	v_and_b32_e32 v23, exec_lo, v23
	v_not_b32_e32 v27, v30
	v_ashrrev_i32_e32 v26, 31, v26
	v_xor_b32_e32 v24, vcc_lo, v24
	v_cmp_gt_i32_e32 vcc_lo, 0, v30
	v_and_b32_e32 v23, v23, v34
	v_not_b32_e32 v30, v31
	v_ashrrev_i32_e32 v27, 31, v27
	v_xor_b32_e32 v26, s0, v26
	v_cmp_gt_i32_e64 s0, 0, v31
	v_and_b32_e32 v23, v23, v24
	v_not_b32_e32 v24, v32
	v_ashrrev_i32_e32 v30, 31, v30
	v_xor_b32_e32 v27, vcc_lo, v27
	v_cmp_gt_i32_e32 vcc_lo, 0, v32
	v_and_b32_e32 v23, v23, v26
	v_not_b32_e32 v26, v28
	v_ashrrev_i32_e32 v24, 31, v24
	v_xor_b32_e32 v30, s0, v30
	v_lshl_add_u32 v22, v22, 4, v22
	v_and_b32_e32 v23, v23, v27
	v_cmp_gt_i32_e64 s0, 0, v28
	v_ashrrev_i32_e32 v26, 31, v26
	v_xor_b32_e32 v27, vcc_lo, v24
	v_add_lshl_u32 v24, v3, v22, 2
	v_and_b32_e32 v23, v23, v30
	s_delay_alu instid0(VALU_DEP_4) | instskip(SKIP_2) | instid1(VALU_DEP_1)
	v_xor_b32_e32 v26, s0, v26
	ds_load_b32 v22, v24 offset:64
	v_and_b32_e32 v23, v23, v27
	; wave barrier
	v_and_b32_e32 v26, v23, v26
	s_delay_alu instid0(VALU_DEP_1) | instskip(SKIP_1) | instid1(VALU_DEP_2)
	v_mbcnt_lo_u32_b32 v23, v26, 0
	v_cmp_ne_u32_e64 s0, 0, v26
	v_cmp_eq_u32_e32 vcc_lo, 0, v23
	s_delay_alu instid0(VALU_DEP_2) | instskip(NEXT) | instid1(SALU_CYCLE_1)
	s_and_b32 s1, s0, vcc_lo
	s_and_saveexec_b32 s0, s1
	s_cbranch_execz .LBB14_231
; %bb.230:
	s_waitcnt lgkmcnt(0)
	v_bcnt_u32_b32 v26, v26, v22
	ds_store_b32 v24, v26 offset:64
.LBB14_231:
	s_or_b32 exec_lo, exec_lo, s0
	v_xor_b32_e32 v21, 0x7fffffff, v21
	; wave barrier
	s_delay_alu instid0(VALU_DEP_1) | instskip(NEXT) | instid1(VALU_DEP_1)
	v_lshrrev_b32_e32 v26, s64, v21
	v_and_b32_e32 v26, s6, v26
	s_delay_alu instid0(VALU_DEP_1)
	v_and_b32_e32 v27, 1, v26
	v_lshlrev_b32_e32 v28, 30, v26
	v_lshlrev_b32_e32 v30, 29, v26
	;; [unrolled: 1-line block ×4, first 2 shown]
	v_add_co_u32 v27, s0, v27, -1
	s_delay_alu instid0(VALU_DEP_1)
	v_cndmask_b32_e64 v32, 0, 1, s0
	v_not_b32_e32 v38, v28
	v_cmp_gt_i32_e64 s0, 0, v28
	v_not_b32_e32 v28, v30
	v_lshlrev_b32_e32 v35, 26, v26
	v_cmp_ne_u32_e32 vcc_lo, 0, v32
	v_ashrrev_i32_e32 v38, 31, v38
	v_lshlrev_b32_e32 v36, 25, v26
	v_ashrrev_i32_e32 v28, 31, v28
	v_lshlrev_b32_e32 v32, 24, v26
	v_xor_b32_e32 v27, vcc_lo, v27
	v_cmp_gt_i32_e32 vcc_lo, 0, v30
	v_not_b32_e32 v30, v31
	v_xor_b32_e32 v38, s0, v38
	v_cmp_gt_i32_e64 s0, 0, v31
	v_and_b32_e32 v27, exec_lo, v27
	v_not_b32_e32 v31, v34
	v_ashrrev_i32_e32 v30, 31, v30
	v_xor_b32_e32 v28, vcc_lo, v28
	v_cmp_gt_i32_e32 vcc_lo, 0, v34
	v_and_b32_e32 v27, v27, v38
	v_not_b32_e32 v34, v35
	v_ashrrev_i32_e32 v31, 31, v31
	v_xor_b32_e32 v30, s0, v30
	v_cmp_gt_i32_e64 s0, 0, v35
	v_and_b32_e32 v27, v27, v28
	v_not_b32_e32 v28, v36
	v_ashrrev_i32_e32 v34, 31, v34
	v_xor_b32_e32 v31, vcc_lo, v31
	v_cmp_gt_i32_e32 vcc_lo, 0, v36
	v_and_b32_e32 v27, v27, v30
	v_not_b32_e32 v30, v32
	v_ashrrev_i32_e32 v28, 31, v28
	v_xor_b32_e32 v34, s0, v34
	v_lshl_add_u32 v26, v26, 4, v26
	v_and_b32_e32 v27, v27, v31
	v_cmp_gt_i32_e64 s0, 0, v32
	v_ashrrev_i32_e32 v30, 31, v30
	v_xor_b32_e32 v31, vcc_lo, v28
	v_add_lshl_u32 v28, v3, v26, 2
	v_and_b32_e32 v27, v27, v34
	s_delay_alu instid0(VALU_DEP_4) | instskip(SKIP_2) | instid1(VALU_DEP_1)
	v_xor_b32_e32 v30, s0, v30
	ds_load_b32 v26, v28 offset:64
	v_and_b32_e32 v27, v27, v31
	; wave barrier
	v_and_b32_e32 v30, v27, v30
	s_delay_alu instid0(VALU_DEP_1) | instskip(SKIP_1) | instid1(VALU_DEP_2)
	v_mbcnt_lo_u32_b32 v27, v30, 0
	v_cmp_ne_u32_e64 s0, 0, v30
	v_cmp_eq_u32_e32 vcc_lo, 0, v27
	s_delay_alu instid0(VALU_DEP_2) | instskip(NEXT) | instid1(SALU_CYCLE_1)
	s_and_b32 s1, s0, vcc_lo
	s_and_saveexec_b32 s0, s1
	s_cbranch_execz .LBB14_233
; %bb.232:
	s_waitcnt lgkmcnt(0)
	v_bcnt_u32_b32 v30, v30, v26
	ds_store_b32 v28, v30 offset:64
.LBB14_233:
	s_or_b32 exec_lo, exec_lo, s0
	v_xor_b32_e32 v25, 0x7fffffff, v25
	; wave barrier
	s_delay_alu instid0(VALU_DEP_1) | instskip(NEXT) | instid1(VALU_DEP_1)
	v_lshrrev_b32_e32 v30, s64, v25
	v_and_b32_e32 v30, s6, v30
	s_delay_alu instid0(VALU_DEP_1)
	v_and_b32_e32 v31, 1, v30
	v_lshlrev_b32_e32 v32, 30, v30
	v_lshlrev_b32_e32 v34, 29, v30
	;; [unrolled: 1-line block ×4, first 2 shown]
	v_add_co_u32 v31, s0, v31, -1
	s_delay_alu instid0(VALU_DEP_1)
	v_cndmask_b32_e64 v36, 0, 1, s0
	v_not_b32_e32 v42, v32
	v_cmp_gt_i32_e64 s0, 0, v32
	v_not_b32_e32 v32, v34
	v_lshlrev_b32_e32 v39, 26, v30
	v_cmp_ne_u32_e32 vcc_lo, 0, v36
	v_ashrrev_i32_e32 v42, 31, v42
	v_lshlrev_b32_e32 v40, 25, v30
	v_ashrrev_i32_e32 v32, 31, v32
	v_lshlrev_b32_e32 v36, 24, v30
	v_xor_b32_e32 v31, vcc_lo, v31
	v_cmp_gt_i32_e32 vcc_lo, 0, v34
	v_not_b32_e32 v34, v35
	v_xor_b32_e32 v42, s0, v42
	v_cmp_gt_i32_e64 s0, 0, v35
	v_and_b32_e32 v31, exec_lo, v31
	v_not_b32_e32 v35, v38
	v_ashrrev_i32_e32 v34, 31, v34
	v_xor_b32_e32 v32, vcc_lo, v32
	v_cmp_gt_i32_e32 vcc_lo, 0, v38
	v_and_b32_e32 v31, v31, v42
	v_not_b32_e32 v38, v39
	v_ashrrev_i32_e32 v35, 31, v35
	v_xor_b32_e32 v34, s0, v34
	v_cmp_gt_i32_e64 s0, 0, v39
	v_and_b32_e32 v31, v31, v32
	v_not_b32_e32 v32, v40
	v_ashrrev_i32_e32 v38, 31, v38
	v_xor_b32_e32 v35, vcc_lo, v35
	v_cmp_gt_i32_e32 vcc_lo, 0, v40
	v_and_b32_e32 v31, v31, v34
	v_not_b32_e32 v34, v36
	v_ashrrev_i32_e32 v32, 31, v32
	v_xor_b32_e32 v38, s0, v38
	v_lshl_add_u32 v30, v30, 4, v30
	v_and_b32_e32 v31, v31, v35
	v_cmp_gt_i32_e64 s0, 0, v36
	v_ashrrev_i32_e32 v34, 31, v34
	v_xor_b32_e32 v35, vcc_lo, v32
	v_add_lshl_u32 v32, v3, v30, 2
	v_and_b32_e32 v31, v31, v38
	s_delay_alu instid0(VALU_DEP_4) | instskip(SKIP_2) | instid1(VALU_DEP_1)
	v_xor_b32_e32 v34, s0, v34
	ds_load_b32 v30, v32 offset:64
	v_and_b32_e32 v31, v31, v35
	; wave barrier
	v_and_b32_e32 v34, v31, v34
	s_delay_alu instid0(VALU_DEP_1) | instskip(SKIP_1) | instid1(VALU_DEP_2)
	v_mbcnt_lo_u32_b32 v31, v34, 0
	v_cmp_ne_u32_e64 s0, 0, v34
	v_cmp_eq_u32_e32 vcc_lo, 0, v31
	s_delay_alu instid0(VALU_DEP_2) | instskip(NEXT) | instid1(SALU_CYCLE_1)
	s_and_b32 s1, s0, vcc_lo
	s_and_saveexec_b32 s0, s1
	s_cbranch_execz .LBB14_235
; %bb.234:
	s_waitcnt lgkmcnt(0)
	v_bcnt_u32_b32 v34, v34, v30
	ds_store_b32 v32, v34 offset:64
.LBB14_235:
	s_or_b32 exec_lo, exec_lo, s0
	v_xor_b32_e32 v29, 0x7fffffff, v29
	; wave barrier
	s_delay_alu instid0(VALU_DEP_1) | instskip(NEXT) | instid1(VALU_DEP_1)
	v_lshrrev_b32_e32 v34, s64, v29
	v_and_b32_e32 v34, s6, v34
	s_delay_alu instid0(VALU_DEP_1)
	v_and_b32_e32 v35, 1, v34
	v_lshlrev_b32_e32 v36, 30, v34
	v_lshlrev_b32_e32 v38, 29, v34
	;; [unrolled: 1-line block ×4, first 2 shown]
	v_add_co_u32 v35, s0, v35, -1
	s_delay_alu instid0(VALU_DEP_1)
	v_cndmask_b32_e64 v40, 0, 1, s0
	v_not_b32_e32 v46, v36
	v_cmp_gt_i32_e64 s0, 0, v36
	v_not_b32_e32 v36, v38
	v_lshlrev_b32_e32 v43, 26, v34
	v_cmp_ne_u32_e32 vcc_lo, 0, v40
	v_ashrrev_i32_e32 v46, 31, v46
	v_lshlrev_b32_e32 v44, 25, v34
	v_ashrrev_i32_e32 v36, 31, v36
	v_lshlrev_b32_e32 v40, 24, v34
	v_xor_b32_e32 v35, vcc_lo, v35
	v_cmp_gt_i32_e32 vcc_lo, 0, v38
	v_not_b32_e32 v38, v39
	v_xor_b32_e32 v46, s0, v46
	v_cmp_gt_i32_e64 s0, 0, v39
	v_and_b32_e32 v35, exec_lo, v35
	v_not_b32_e32 v39, v42
	v_ashrrev_i32_e32 v38, 31, v38
	v_xor_b32_e32 v36, vcc_lo, v36
	v_cmp_gt_i32_e32 vcc_lo, 0, v42
	v_and_b32_e32 v35, v35, v46
	v_not_b32_e32 v42, v43
	v_ashrrev_i32_e32 v39, 31, v39
	v_xor_b32_e32 v38, s0, v38
	v_cmp_gt_i32_e64 s0, 0, v43
	v_and_b32_e32 v35, v35, v36
	v_not_b32_e32 v36, v44
	v_ashrrev_i32_e32 v42, 31, v42
	v_xor_b32_e32 v39, vcc_lo, v39
	v_cmp_gt_i32_e32 vcc_lo, 0, v44
	v_and_b32_e32 v35, v35, v38
	v_not_b32_e32 v38, v40
	v_ashrrev_i32_e32 v36, 31, v36
	v_xor_b32_e32 v42, s0, v42
	v_lshl_add_u32 v34, v34, 4, v34
	v_and_b32_e32 v35, v35, v39
	v_cmp_gt_i32_e64 s0, 0, v40
	v_ashrrev_i32_e32 v38, 31, v38
	v_xor_b32_e32 v39, vcc_lo, v36
	v_add_lshl_u32 v36, v3, v34, 2
	v_and_b32_e32 v35, v35, v42
	s_delay_alu instid0(VALU_DEP_4) | instskip(SKIP_2) | instid1(VALU_DEP_1)
	v_xor_b32_e32 v38, s0, v38
	ds_load_b32 v34, v36 offset:64
	v_and_b32_e32 v35, v35, v39
	; wave barrier
	v_and_b32_e32 v38, v35, v38
	s_delay_alu instid0(VALU_DEP_1) | instskip(SKIP_1) | instid1(VALU_DEP_2)
	v_mbcnt_lo_u32_b32 v35, v38, 0
	v_cmp_ne_u32_e64 s0, 0, v38
	v_cmp_eq_u32_e32 vcc_lo, 0, v35
	s_delay_alu instid0(VALU_DEP_2) | instskip(NEXT) | instid1(SALU_CYCLE_1)
	s_and_b32 s1, s0, vcc_lo
	s_and_saveexec_b32 s0, s1
	s_cbranch_execz .LBB14_237
; %bb.236:
	s_waitcnt lgkmcnt(0)
	v_bcnt_u32_b32 v38, v38, v34
	ds_store_b32 v36, v38 offset:64
.LBB14_237:
	s_or_b32 exec_lo, exec_lo, s0
	v_xor_b32_e32 v33, 0x7fffffff, v33
	; wave barrier
	s_delay_alu instid0(VALU_DEP_1) | instskip(NEXT) | instid1(VALU_DEP_1)
	v_lshrrev_b32_e32 v38, s64, v33
	v_and_b32_e32 v38, s6, v38
	s_delay_alu instid0(VALU_DEP_1)
	v_and_b32_e32 v39, 1, v38
	v_lshlrev_b32_e32 v40, 30, v38
	v_lshlrev_b32_e32 v42, 29, v38
	;; [unrolled: 1-line block ×4, first 2 shown]
	v_add_co_u32 v39, s0, v39, -1
	s_delay_alu instid0(VALU_DEP_1)
	v_cndmask_b32_e64 v44, 0, 1, s0
	v_not_b32_e32 v51, v40
	v_cmp_gt_i32_e64 s0, 0, v40
	v_not_b32_e32 v40, v42
	v_lshlrev_b32_e32 v47, 26, v38
	v_cmp_ne_u32_e32 vcc_lo, 0, v44
	v_ashrrev_i32_e32 v51, 31, v51
	v_lshlrev_b32_e32 v48, 25, v38
	v_ashrrev_i32_e32 v40, 31, v40
	v_lshlrev_b32_e32 v44, 24, v38
	v_xor_b32_e32 v39, vcc_lo, v39
	v_cmp_gt_i32_e32 vcc_lo, 0, v42
	v_not_b32_e32 v42, v43
	v_xor_b32_e32 v51, s0, v51
	v_cmp_gt_i32_e64 s0, 0, v43
	v_and_b32_e32 v39, exec_lo, v39
	v_not_b32_e32 v43, v46
	v_ashrrev_i32_e32 v42, 31, v42
	v_xor_b32_e32 v40, vcc_lo, v40
	v_cmp_gt_i32_e32 vcc_lo, 0, v46
	v_and_b32_e32 v39, v39, v51
	v_not_b32_e32 v46, v47
	v_ashrrev_i32_e32 v43, 31, v43
	v_xor_b32_e32 v42, s0, v42
	v_cmp_gt_i32_e64 s0, 0, v47
	v_and_b32_e32 v39, v39, v40
	v_not_b32_e32 v40, v48
	v_ashrrev_i32_e32 v46, 31, v46
	v_xor_b32_e32 v43, vcc_lo, v43
	v_cmp_gt_i32_e32 vcc_lo, 0, v48
	v_and_b32_e32 v39, v39, v42
	v_not_b32_e32 v42, v44
	v_ashrrev_i32_e32 v40, 31, v40
	v_xor_b32_e32 v46, s0, v46
	v_lshl_add_u32 v38, v38, 4, v38
	v_and_b32_e32 v39, v39, v43
	v_cmp_gt_i32_e64 s0, 0, v44
	v_ashrrev_i32_e32 v42, 31, v42
	v_xor_b32_e32 v43, vcc_lo, v40
	v_add_lshl_u32 v40, v3, v38, 2
	v_and_b32_e32 v39, v39, v46
	s_delay_alu instid0(VALU_DEP_4) | instskip(SKIP_2) | instid1(VALU_DEP_1)
	v_xor_b32_e32 v42, s0, v42
	ds_load_b32 v38, v40 offset:64
	v_and_b32_e32 v39, v39, v43
	; wave barrier
	v_and_b32_e32 v42, v39, v42
	s_delay_alu instid0(VALU_DEP_1) | instskip(SKIP_1) | instid1(VALU_DEP_2)
	v_mbcnt_lo_u32_b32 v39, v42, 0
	v_cmp_ne_u32_e64 s0, 0, v42
	v_cmp_eq_u32_e32 vcc_lo, 0, v39
	s_delay_alu instid0(VALU_DEP_2) | instskip(NEXT) | instid1(SALU_CYCLE_1)
	s_and_b32 s1, s0, vcc_lo
	s_and_saveexec_b32 s0, s1
	s_cbranch_execz .LBB14_239
; %bb.238:
	s_waitcnt lgkmcnt(0)
	v_bcnt_u32_b32 v42, v42, v38
	ds_store_b32 v40, v42 offset:64
.LBB14_239:
	s_or_b32 exec_lo, exec_lo, s0
	v_xor_b32_e32 v37, 0x7fffffff, v37
	; wave barrier
	s_delay_alu instid0(VALU_DEP_1) | instskip(NEXT) | instid1(VALU_DEP_1)
	v_lshrrev_b32_e32 v42, s64, v37
	v_and_b32_e32 v42, s6, v42
	s_delay_alu instid0(VALU_DEP_1)
	v_and_b32_e32 v43, 1, v42
	v_lshlrev_b32_e32 v44, 30, v42
	v_lshlrev_b32_e32 v46, 29, v42
	;; [unrolled: 1-line block ×4, first 2 shown]
	v_add_co_u32 v43, s0, v43, -1
	s_delay_alu instid0(VALU_DEP_1)
	v_cndmask_b32_e64 v48, 0, 1, s0
	v_not_b32_e32 v56, v44
	v_cmp_gt_i32_e64 s0, 0, v44
	v_not_b32_e32 v44, v46
	v_lshlrev_b32_e32 v52, 26, v42
	v_cmp_ne_u32_e32 vcc_lo, 0, v48
	v_ashrrev_i32_e32 v56, 31, v56
	v_lshlrev_b32_e32 v53, 25, v42
	v_ashrrev_i32_e32 v44, 31, v44
	v_lshlrev_b32_e32 v48, 24, v42
	v_xor_b32_e32 v43, vcc_lo, v43
	v_cmp_gt_i32_e32 vcc_lo, 0, v46
	v_not_b32_e32 v46, v47
	v_xor_b32_e32 v56, s0, v56
	v_cmp_gt_i32_e64 s0, 0, v47
	v_and_b32_e32 v43, exec_lo, v43
	v_not_b32_e32 v47, v51
	v_ashrrev_i32_e32 v46, 31, v46
	v_xor_b32_e32 v44, vcc_lo, v44
	v_cmp_gt_i32_e32 vcc_lo, 0, v51
	v_and_b32_e32 v43, v43, v56
	v_not_b32_e32 v51, v52
	v_ashrrev_i32_e32 v47, 31, v47
	v_xor_b32_e32 v46, s0, v46
	v_cmp_gt_i32_e64 s0, 0, v52
	v_and_b32_e32 v43, v43, v44
	v_not_b32_e32 v44, v53
	v_ashrrev_i32_e32 v51, 31, v51
	v_xor_b32_e32 v47, vcc_lo, v47
	v_cmp_gt_i32_e32 vcc_lo, 0, v53
	v_and_b32_e32 v43, v43, v46
	v_not_b32_e32 v46, v48
	v_ashrrev_i32_e32 v44, 31, v44
	v_xor_b32_e32 v51, s0, v51
	v_lshl_add_u32 v42, v42, 4, v42
	v_and_b32_e32 v43, v43, v47
	v_cmp_gt_i32_e64 s0, 0, v48
	v_ashrrev_i32_e32 v46, 31, v46
	v_xor_b32_e32 v47, vcc_lo, v44
	v_add_lshl_u32 v44, v3, v42, 2
	v_and_b32_e32 v43, v43, v51
	s_delay_alu instid0(VALU_DEP_4) | instskip(SKIP_2) | instid1(VALU_DEP_1)
	v_xor_b32_e32 v46, s0, v46
	ds_load_b32 v42, v44 offset:64
	v_and_b32_e32 v43, v43, v47
	; wave barrier
	v_and_b32_e32 v46, v43, v46
	s_delay_alu instid0(VALU_DEP_1) | instskip(SKIP_1) | instid1(VALU_DEP_2)
	v_mbcnt_lo_u32_b32 v43, v46, 0
	v_cmp_ne_u32_e64 s0, 0, v46
	v_cmp_eq_u32_e32 vcc_lo, 0, v43
	s_delay_alu instid0(VALU_DEP_2) | instskip(NEXT) | instid1(SALU_CYCLE_1)
	s_and_b32 s1, s0, vcc_lo
	s_and_saveexec_b32 s0, s1
	s_cbranch_execz .LBB14_241
; %bb.240:
	s_waitcnt lgkmcnt(0)
	v_bcnt_u32_b32 v46, v46, v42
	ds_store_b32 v44, v46 offset:64
.LBB14_241:
	s_or_b32 exec_lo, exec_lo, s0
	v_xor_b32_e32 v41, 0x7fffffff, v41
	; wave barrier
	s_delay_alu instid0(VALU_DEP_1) | instskip(NEXT) | instid1(VALU_DEP_1)
	v_lshrrev_b32_e32 v46, s64, v41
	v_and_b32_e32 v46, s6, v46
	s_delay_alu instid0(VALU_DEP_1)
	v_and_b32_e32 v47, 1, v46
	v_lshlrev_b32_e32 v48, 30, v46
	v_lshlrev_b32_e32 v51, 29, v46
	;; [unrolled: 1-line block ×4, first 2 shown]
	v_add_co_u32 v47, s0, v47, -1
	s_delay_alu instid0(VALU_DEP_1)
	v_cndmask_b32_e64 v53, 0, 1, s0
	v_not_b32_e32 v60, v48
	v_cmp_gt_i32_e64 s0, 0, v48
	v_not_b32_e32 v48, v51
	v_lshlrev_b32_e32 v57, 26, v46
	v_cmp_ne_u32_e32 vcc_lo, 0, v53
	v_ashrrev_i32_e32 v60, 31, v60
	v_lshlrev_b32_e32 v58, 25, v46
	v_ashrrev_i32_e32 v48, 31, v48
	v_lshlrev_b32_e32 v53, 24, v46
	v_xor_b32_e32 v47, vcc_lo, v47
	v_cmp_gt_i32_e32 vcc_lo, 0, v51
	v_not_b32_e32 v51, v52
	v_xor_b32_e32 v60, s0, v60
	v_cmp_gt_i32_e64 s0, 0, v52
	v_and_b32_e32 v47, exec_lo, v47
	v_not_b32_e32 v52, v56
	v_ashrrev_i32_e32 v51, 31, v51
	v_xor_b32_e32 v48, vcc_lo, v48
	v_cmp_gt_i32_e32 vcc_lo, 0, v56
	v_and_b32_e32 v47, v47, v60
	v_not_b32_e32 v56, v57
	v_ashrrev_i32_e32 v52, 31, v52
	v_xor_b32_e32 v51, s0, v51
	v_cmp_gt_i32_e64 s0, 0, v57
	v_and_b32_e32 v47, v47, v48
	v_not_b32_e32 v48, v58
	v_ashrrev_i32_e32 v56, 31, v56
	v_xor_b32_e32 v52, vcc_lo, v52
	v_cmp_gt_i32_e32 vcc_lo, 0, v58
	v_and_b32_e32 v47, v47, v51
	v_not_b32_e32 v51, v53
	v_ashrrev_i32_e32 v48, 31, v48
	v_xor_b32_e32 v56, s0, v56
	v_lshl_add_u32 v46, v46, 4, v46
	v_and_b32_e32 v47, v47, v52
	v_cmp_gt_i32_e64 s0, 0, v53
	v_ashrrev_i32_e32 v51, 31, v51
	v_xor_b32_e32 v52, vcc_lo, v48
	v_add_lshl_u32 v48, v3, v46, 2
	v_and_b32_e32 v47, v47, v56
	s_delay_alu instid0(VALU_DEP_4) | instskip(SKIP_2) | instid1(VALU_DEP_1)
	v_xor_b32_e32 v51, s0, v51
	ds_load_b32 v46, v48 offset:64
	v_and_b32_e32 v47, v47, v52
	; wave barrier
	v_and_b32_e32 v51, v47, v51
	s_delay_alu instid0(VALU_DEP_1) | instskip(SKIP_1) | instid1(VALU_DEP_2)
	v_mbcnt_lo_u32_b32 v47, v51, 0
	v_cmp_ne_u32_e64 s0, 0, v51
	v_cmp_eq_u32_e32 vcc_lo, 0, v47
	s_delay_alu instid0(VALU_DEP_2) | instskip(NEXT) | instid1(SALU_CYCLE_1)
	s_and_b32 s1, s0, vcc_lo
	s_and_saveexec_b32 s0, s1
	s_cbranch_execz .LBB14_243
; %bb.242:
	s_waitcnt lgkmcnt(0)
	v_bcnt_u32_b32 v51, v51, v46
	ds_store_b32 v48, v51 offset:64
.LBB14_243:
	s_or_b32 exec_lo, exec_lo, s0
	v_xor_b32_e32 v45, 0x7fffffff, v45
	; wave barrier
	s_delay_alu instid0(VALU_DEP_1) | instskip(NEXT) | instid1(VALU_DEP_1)
	v_lshrrev_b32_e32 v51, s64, v45
	v_and_b32_e32 v51, s6, v51
	s_delay_alu instid0(VALU_DEP_1)
	v_and_b32_e32 v52, 1, v51
	v_lshlrev_b32_e32 v53, 30, v51
	v_lshlrev_b32_e32 v56, 29, v51
	;; [unrolled: 1-line block ×4, first 2 shown]
	v_add_co_u32 v52, s0, v52, -1
	s_delay_alu instid0(VALU_DEP_1)
	v_cndmask_b32_e64 v58, 0, 1, s0
	v_not_b32_e32 v63, v53
	v_cmp_gt_i32_e64 s0, 0, v53
	v_not_b32_e32 v53, v56
	v_lshlrev_b32_e32 v61, 26, v51
	v_cmp_ne_u32_e32 vcc_lo, 0, v58
	v_ashrrev_i32_e32 v63, 31, v63
	v_lshlrev_b32_e32 v62, 25, v51
	v_ashrrev_i32_e32 v53, 31, v53
	v_lshlrev_b32_e32 v58, 24, v51
	v_xor_b32_e32 v52, vcc_lo, v52
	v_cmp_gt_i32_e32 vcc_lo, 0, v56
	v_not_b32_e32 v56, v57
	v_xor_b32_e32 v63, s0, v63
	v_cmp_gt_i32_e64 s0, 0, v57
	v_and_b32_e32 v52, exec_lo, v52
	v_not_b32_e32 v57, v60
	v_ashrrev_i32_e32 v56, 31, v56
	v_xor_b32_e32 v53, vcc_lo, v53
	v_cmp_gt_i32_e32 vcc_lo, 0, v60
	v_and_b32_e32 v52, v52, v63
	v_not_b32_e32 v60, v61
	v_ashrrev_i32_e32 v57, 31, v57
	v_xor_b32_e32 v56, s0, v56
	v_cmp_gt_i32_e64 s0, 0, v61
	v_and_b32_e32 v52, v52, v53
	v_not_b32_e32 v53, v62
	v_ashrrev_i32_e32 v60, 31, v60
	v_xor_b32_e32 v57, vcc_lo, v57
	v_cmp_gt_i32_e32 vcc_lo, 0, v62
	v_and_b32_e32 v52, v52, v56
	v_not_b32_e32 v56, v58
	v_ashrrev_i32_e32 v53, 31, v53
	v_xor_b32_e32 v60, s0, v60
	v_lshl_add_u32 v51, v51, 4, v51
	v_and_b32_e32 v52, v52, v57
	v_cmp_gt_i32_e64 s0, 0, v58
	v_ashrrev_i32_e32 v56, 31, v56
	v_xor_b32_e32 v57, vcc_lo, v53
	v_add_lshl_u32 v53, v3, v51, 2
	v_and_b32_e32 v52, v52, v60
	s_delay_alu instid0(VALU_DEP_4) | instskip(SKIP_2) | instid1(VALU_DEP_1)
	v_xor_b32_e32 v56, s0, v56
	ds_load_b32 v51, v53 offset:64
	v_and_b32_e32 v52, v52, v57
	; wave barrier
	v_and_b32_e32 v56, v52, v56
	s_delay_alu instid0(VALU_DEP_1) | instskip(SKIP_1) | instid1(VALU_DEP_2)
	v_mbcnt_lo_u32_b32 v52, v56, 0
	v_cmp_ne_u32_e64 s0, 0, v56
	v_cmp_eq_u32_e32 vcc_lo, 0, v52
	s_delay_alu instid0(VALU_DEP_2) | instskip(NEXT) | instid1(SALU_CYCLE_1)
	s_and_b32 s1, s0, vcc_lo
	s_and_saveexec_b32 s0, s1
	s_cbranch_execz .LBB14_245
; %bb.244:
	s_waitcnt lgkmcnt(0)
	v_bcnt_u32_b32 v56, v56, v51
	ds_store_b32 v53, v56 offset:64
.LBB14_245:
	s_or_b32 exec_lo, exec_lo, s0
	v_xor_b32_e32 v50, 0x7fffffff, v50
	; wave barrier
	s_delay_alu instid0(VALU_DEP_1) | instskip(NEXT) | instid1(VALU_DEP_1)
	v_lshrrev_b32_e32 v56, s64, v50
	v_and_b32_e32 v56, s6, v56
	s_delay_alu instid0(VALU_DEP_1)
	v_and_b32_e32 v57, 1, v56
	v_lshlrev_b32_e32 v58, 30, v56
	v_lshlrev_b32_e32 v60, 29, v56
	;; [unrolled: 1-line block ×4, first 2 shown]
	v_add_co_u32 v57, s0, v57, -1
	s_delay_alu instid0(VALU_DEP_1)
	v_cndmask_b32_e64 v62, 0, 1, s0
	v_not_b32_e32 v66, v58
	v_cmp_gt_i32_e64 s0, 0, v58
	v_not_b32_e32 v58, v60
	v_lshlrev_b32_e32 v64, 26, v56
	v_cmp_ne_u32_e32 vcc_lo, 0, v62
	v_ashrrev_i32_e32 v66, 31, v66
	v_lshlrev_b32_e32 v65, 25, v56
	v_ashrrev_i32_e32 v58, 31, v58
	v_lshlrev_b32_e32 v62, 24, v56
	v_xor_b32_e32 v57, vcc_lo, v57
	v_cmp_gt_i32_e32 vcc_lo, 0, v60
	v_not_b32_e32 v60, v61
	v_xor_b32_e32 v66, s0, v66
	v_cmp_gt_i32_e64 s0, 0, v61
	v_and_b32_e32 v57, exec_lo, v57
	v_not_b32_e32 v61, v63
	v_ashrrev_i32_e32 v60, 31, v60
	v_xor_b32_e32 v58, vcc_lo, v58
	v_cmp_gt_i32_e32 vcc_lo, 0, v63
	v_and_b32_e32 v57, v57, v66
	v_not_b32_e32 v63, v64
	v_ashrrev_i32_e32 v61, 31, v61
	v_xor_b32_e32 v60, s0, v60
	v_cmp_gt_i32_e64 s0, 0, v64
	v_and_b32_e32 v57, v57, v58
	v_not_b32_e32 v58, v65
	v_ashrrev_i32_e32 v63, 31, v63
	v_xor_b32_e32 v61, vcc_lo, v61
	v_cmp_gt_i32_e32 vcc_lo, 0, v65
	v_and_b32_e32 v57, v57, v60
	v_not_b32_e32 v60, v62
	v_ashrrev_i32_e32 v58, 31, v58
	v_xor_b32_e32 v63, s0, v63
	v_lshl_add_u32 v56, v56, 4, v56
	v_and_b32_e32 v57, v57, v61
	v_cmp_gt_i32_e64 s0, 0, v62
	v_ashrrev_i32_e32 v60, 31, v60
	v_xor_b32_e32 v61, vcc_lo, v58
	v_add_lshl_u32 v58, v3, v56, 2
	v_and_b32_e32 v57, v57, v63
	s_delay_alu instid0(VALU_DEP_4) | instskip(SKIP_2) | instid1(VALU_DEP_1)
	v_xor_b32_e32 v60, s0, v60
	ds_load_b32 v56, v58 offset:64
	v_and_b32_e32 v57, v57, v61
	; wave barrier
	v_and_b32_e32 v60, v57, v60
	s_delay_alu instid0(VALU_DEP_1) | instskip(SKIP_1) | instid1(VALU_DEP_2)
	v_mbcnt_lo_u32_b32 v57, v60, 0
	v_cmp_ne_u32_e64 s0, 0, v60
	v_cmp_eq_u32_e32 vcc_lo, 0, v57
	s_delay_alu instid0(VALU_DEP_2) | instskip(NEXT) | instid1(SALU_CYCLE_1)
	s_and_b32 s1, s0, vcc_lo
	s_and_saveexec_b32 s0, s1
	s_cbranch_execz .LBB14_247
; %bb.246:
	s_waitcnt lgkmcnt(0)
	v_bcnt_u32_b32 v60, v60, v56
	ds_store_b32 v58, v60 offset:64
.LBB14_247:
	s_or_b32 exec_lo, exec_lo, s0
	v_xor_b32_e32 v55, 0x7fffffff, v55
	; wave barrier
	s_delay_alu instid0(VALU_DEP_1) | instskip(NEXT) | instid1(VALU_DEP_1)
	v_lshrrev_b32_e32 v60, s64, v55
	v_and_b32_e32 v60, s6, v60
	s_delay_alu instid0(VALU_DEP_1)
	v_and_b32_e32 v61, 1, v60
	v_lshlrev_b32_e32 v62, 30, v60
	v_lshlrev_b32_e32 v63, 29, v60
	;; [unrolled: 1-line block ×4, first 2 shown]
	v_add_co_u32 v61, s0, v61, -1
	s_delay_alu instid0(VALU_DEP_1)
	v_cndmask_b32_e64 v65, 0, 1, s0
	v_not_b32_e32 v69, v62
	v_cmp_gt_i32_e64 s0, 0, v62
	v_not_b32_e32 v62, v63
	v_lshlrev_b32_e32 v67, 26, v60
	v_cmp_ne_u32_e32 vcc_lo, 0, v65
	v_ashrrev_i32_e32 v69, 31, v69
	v_lshlrev_b32_e32 v68, 25, v60
	v_ashrrev_i32_e32 v62, 31, v62
	v_lshlrev_b32_e32 v65, 24, v60
	v_xor_b32_e32 v61, vcc_lo, v61
	v_cmp_gt_i32_e32 vcc_lo, 0, v63
	v_not_b32_e32 v63, v64
	v_xor_b32_e32 v69, s0, v69
	v_cmp_gt_i32_e64 s0, 0, v64
	v_and_b32_e32 v61, exec_lo, v61
	v_not_b32_e32 v64, v66
	v_ashrrev_i32_e32 v63, 31, v63
	v_xor_b32_e32 v62, vcc_lo, v62
	v_cmp_gt_i32_e32 vcc_lo, 0, v66
	v_and_b32_e32 v61, v61, v69
	v_not_b32_e32 v66, v67
	v_ashrrev_i32_e32 v64, 31, v64
	v_xor_b32_e32 v63, s0, v63
	v_cmp_gt_i32_e64 s0, 0, v67
	v_and_b32_e32 v61, v61, v62
	v_not_b32_e32 v62, v68
	v_ashrrev_i32_e32 v66, 31, v66
	v_xor_b32_e32 v64, vcc_lo, v64
	v_cmp_gt_i32_e32 vcc_lo, 0, v68
	v_and_b32_e32 v61, v61, v63
	v_not_b32_e32 v63, v65
	v_ashrrev_i32_e32 v62, 31, v62
	v_xor_b32_e32 v66, s0, v66
	v_lshl_add_u32 v60, v60, 4, v60
	v_and_b32_e32 v61, v61, v64
	v_cmp_gt_i32_e64 s0, 0, v65
	v_ashrrev_i32_e32 v63, 31, v63
	v_xor_b32_e32 v64, vcc_lo, v62
	v_add_lshl_u32 v62, v3, v60, 2
	v_and_b32_e32 v61, v61, v66
	s_delay_alu instid0(VALU_DEP_4) | instskip(SKIP_2) | instid1(VALU_DEP_1)
	v_xor_b32_e32 v63, s0, v63
	ds_load_b32 v60, v62 offset:64
	v_and_b32_e32 v61, v61, v64
	; wave barrier
	v_and_b32_e32 v63, v61, v63
	s_delay_alu instid0(VALU_DEP_1) | instskip(SKIP_1) | instid1(VALU_DEP_2)
	v_mbcnt_lo_u32_b32 v61, v63, 0
	v_cmp_ne_u32_e64 s0, 0, v63
	v_cmp_eq_u32_e32 vcc_lo, 0, v61
	s_delay_alu instid0(VALU_DEP_2) | instskip(NEXT) | instid1(SALU_CYCLE_1)
	s_and_b32 s1, s0, vcc_lo
	s_and_saveexec_b32 s0, s1
	s_cbranch_execz .LBB14_249
; %bb.248:
	s_waitcnt lgkmcnt(0)
	v_bcnt_u32_b32 v63, v63, v60
	ds_store_b32 v62, v63 offset:64
.LBB14_249:
	s_or_b32 exec_lo, exec_lo, s0
	v_xor_b32_e32 v59, 0x7fffffff, v59
	; wave barrier
	s_delay_alu instid0(VALU_DEP_1) | instskip(NEXT) | instid1(VALU_DEP_1)
	v_lshrrev_b32_e32 v63, s64, v59
	v_and_b32_e32 v63, s6, v63
	s_delay_alu instid0(VALU_DEP_1)
	v_and_b32_e32 v64, 1, v63
	v_lshlrev_b32_e32 v65, 30, v63
	v_lshlrev_b32_e32 v66, 29, v63
	;; [unrolled: 1-line block ×4, first 2 shown]
	v_add_co_u32 v64, s0, v64, -1
	s_delay_alu instid0(VALU_DEP_1)
	v_cndmask_b32_e64 v68, 0, 1, s0
	v_not_b32_e32 v72, v65
	v_cmp_gt_i32_e64 s0, 0, v65
	v_not_b32_e32 v65, v66
	v_lshlrev_b32_e32 v70, 26, v63
	v_cmp_ne_u32_e32 vcc_lo, 0, v68
	v_ashrrev_i32_e32 v72, 31, v72
	v_lshlrev_b32_e32 v71, 25, v63
	v_ashrrev_i32_e32 v65, 31, v65
	v_lshlrev_b32_e32 v68, 24, v63
	v_xor_b32_e32 v64, vcc_lo, v64
	v_cmp_gt_i32_e32 vcc_lo, 0, v66
	v_not_b32_e32 v66, v67
	v_xor_b32_e32 v72, s0, v72
	v_cmp_gt_i32_e64 s0, 0, v67
	v_and_b32_e32 v64, exec_lo, v64
	v_not_b32_e32 v67, v69
	v_ashrrev_i32_e32 v66, 31, v66
	v_xor_b32_e32 v65, vcc_lo, v65
	v_cmp_gt_i32_e32 vcc_lo, 0, v69
	v_and_b32_e32 v64, v64, v72
	v_not_b32_e32 v69, v70
	v_ashrrev_i32_e32 v67, 31, v67
	v_xor_b32_e32 v66, s0, v66
	v_cmp_gt_i32_e64 s0, 0, v70
	v_and_b32_e32 v64, v64, v65
	v_not_b32_e32 v65, v71
	v_ashrrev_i32_e32 v69, 31, v69
	v_xor_b32_e32 v67, vcc_lo, v67
	v_cmp_gt_i32_e32 vcc_lo, 0, v71
	v_and_b32_e32 v64, v64, v66
	v_not_b32_e32 v66, v68
	v_ashrrev_i32_e32 v65, 31, v65
	v_xor_b32_e32 v69, s0, v69
	v_lshl_add_u32 v63, v63, 4, v63
	v_and_b32_e32 v64, v64, v67
	v_cmp_gt_i32_e64 s0, 0, v68
	v_ashrrev_i32_e32 v66, 31, v66
	v_xor_b32_e32 v67, vcc_lo, v65
	v_add_lshl_u32 v65, v3, v63, 2
	v_and_b32_e32 v64, v64, v69
	s_delay_alu instid0(VALU_DEP_4) | instskip(SKIP_2) | instid1(VALU_DEP_1)
	v_xor_b32_e32 v66, s0, v66
	ds_load_b32 v63, v65 offset:64
	v_and_b32_e32 v64, v64, v67
	; wave barrier
	v_and_b32_e32 v66, v64, v66
	s_delay_alu instid0(VALU_DEP_1) | instskip(SKIP_1) | instid1(VALU_DEP_2)
	v_mbcnt_lo_u32_b32 v64, v66, 0
	v_cmp_ne_u32_e64 s0, 0, v66
	v_cmp_eq_u32_e32 vcc_lo, 0, v64
	s_delay_alu instid0(VALU_DEP_2) | instskip(NEXT) | instid1(SALU_CYCLE_1)
	s_and_b32 s1, s0, vcc_lo
	s_and_saveexec_b32 s0, s1
	s_cbranch_execz .LBB14_251
; %bb.250:
	s_waitcnt lgkmcnt(0)
	v_bcnt_u32_b32 v66, v66, v63
	ds_store_b32 v65, v66 offset:64
.LBB14_251:
	s_or_b32 exec_lo, exec_lo, s0
	v_xor_b32_e32 v54, 0x7fffffff, v54
	; wave barrier
	s_delay_alu instid0(VALU_DEP_1) | instskip(NEXT) | instid1(VALU_DEP_1)
	v_lshrrev_b32_e32 v66, s64, v54
	v_and_b32_e32 v66, s6, v66
	s_delay_alu instid0(VALU_DEP_1)
	v_and_b32_e32 v67, 1, v66
	v_lshlrev_b32_e32 v68, 30, v66
	v_lshlrev_b32_e32 v69, 29, v66
	;; [unrolled: 1-line block ×4, first 2 shown]
	v_add_co_u32 v67, s0, v67, -1
	s_delay_alu instid0(VALU_DEP_1)
	v_cndmask_b32_e64 v71, 0, 1, s0
	v_not_b32_e32 v75, v68
	v_cmp_gt_i32_e64 s0, 0, v68
	v_not_b32_e32 v68, v69
	v_lshlrev_b32_e32 v73, 26, v66
	v_cmp_ne_u32_e32 vcc_lo, 0, v71
	v_ashrrev_i32_e32 v75, 31, v75
	v_lshlrev_b32_e32 v74, 25, v66
	v_ashrrev_i32_e32 v68, 31, v68
	v_lshlrev_b32_e32 v71, 24, v66
	v_xor_b32_e32 v67, vcc_lo, v67
	v_cmp_gt_i32_e32 vcc_lo, 0, v69
	v_not_b32_e32 v69, v70
	v_xor_b32_e32 v75, s0, v75
	v_cmp_gt_i32_e64 s0, 0, v70
	v_and_b32_e32 v67, exec_lo, v67
	v_not_b32_e32 v70, v72
	v_ashrrev_i32_e32 v69, 31, v69
	v_xor_b32_e32 v68, vcc_lo, v68
	v_cmp_gt_i32_e32 vcc_lo, 0, v72
	v_and_b32_e32 v67, v67, v75
	v_not_b32_e32 v72, v73
	v_ashrrev_i32_e32 v70, 31, v70
	v_xor_b32_e32 v69, s0, v69
	v_cmp_gt_i32_e64 s0, 0, v73
	v_and_b32_e32 v67, v67, v68
	v_not_b32_e32 v68, v74
	v_ashrrev_i32_e32 v72, 31, v72
	v_xor_b32_e32 v70, vcc_lo, v70
	v_cmp_gt_i32_e32 vcc_lo, 0, v74
	v_and_b32_e32 v67, v67, v69
	v_not_b32_e32 v69, v71
	v_ashrrev_i32_e32 v68, 31, v68
	v_xor_b32_e32 v72, s0, v72
	v_lshl_add_u32 v66, v66, 4, v66
	v_and_b32_e32 v67, v67, v70
	v_cmp_gt_i32_e64 s0, 0, v71
	v_ashrrev_i32_e32 v69, 31, v69
	v_xor_b32_e32 v70, vcc_lo, v68
	v_add_lshl_u32 v68, v3, v66, 2
	v_and_b32_e32 v67, v67, v72
	s_delay_alu instid0(VALU_DEP_4) | instskip(SKIP_2) | instid1(VALU_DEP_1)
	v_xor_b32_e32 v69, s0, v69
	ds_load_b32 v66, v68 offset:64
	v_and_b32_e32 v67, v67, v70
	; wave barrier
	v_and_b32_e32 v69, v67, v69
	s_delay_alu instid0(VALU_DEP_1) | instskip(SKIP_1) | instid1(VALU_DEP_2)
	v_mbcnt_lo_u32_b32 v67, v69, 0
	v_cmp_ne_u32_e64 s0, 0, v69
	v_cmp_eq_u32_e32 vcc_lo, 0, v67
	s_delay_alu instid0(VALU_DEP_2) | instskip(NEXT) | instid1(SALU_CYCLE_1)
	s_and_b32 s1, s0, vcc_lo
	s_and_saveexec_b32 s0, s1
	s_cbranch_execz .LBB14_253
; %bb.252:
	s_waitcnt lgkmcnt(0)
	v_bcnt_u32_b32 v69, v69, v66
	ds_store_b32 v68, v69 offset:64
.LBB14_253:
	s_or_b32 exec_lo, exec_lo, s0
	v_xor_b32_e32 v49, 0x7fffffff, v49
	; wave barrier
	s_delay_alu instid0(VALU_DEP_1) | instskip(NEXT) | instid1(VALU_DEP_1)
	v_lshrrev_b32_e32 v69, s64, v49
	v_and_b32_e32 v69, s6, v69
	s_delay_alu instid0(VALU_DEP_1)
	v_and_b32_e32 v70, 1, v69
	v_lshlrev_b32_e32 v71, 30, v69
	v_lshlrev_b32_e32 v72, 29, v69
	;; [unrolled: 1-line block ×4, first 2 shown]
	v_add_co_u32 v70, s0, v70, -1
	s_delay_alu instid0(VALU_DEP_1)
	v_cndmask_b32_e64 v74, 0, 1, s0
	v_not_b32_e32 v78, v71
	v_cmp_gt_i32_e64 s0, 0, v71
	v_not_b32_e32 v71, v72
	v_lshlrev_b32_e32 v76, 26, v69
	v_cmp_ne_u32_e32 vcc_lo, 0, v74
	v_ashrrev_i32_e32 v78, 31, v78
	v_lshlrev_b32_e32 v77, 25, v69
	v_ashrrev_i32_e32 v71, 31, v71
	v_lshlrev_b32_e32 v74, 24, v69
	v_xor_b32_e32 v70, vcc_lo, v70
	v_cmp_gt_i32_e32 vcc_lo, 0, v72
	v_not_b32_e32 v72, v73
	v_xor_b32_e32 v78, s0, v78
	v_cmp_gt_i32_e64 s0, 0, v73
	v_and_b32_e32 v70, exec_lo, v70
	v_not_b32_e32 v73, v75
	v_ashrrev_i32_e32 v72, 31, v72
	v_xor_b32_e32 v71, vcc_lo, v71
	v_cmp_gt_i32_e32 vcc_lo, 0, v75
	v_and_b32_e32 v70, v70, v78
	v_not_b32_e32 v75, v76
	v_ashrrev_i32_e32 v73, 31, v73
	v_xor_b32_e32 v72, s0, v72
	v_cmp_gt_i32_e64 s0, 0, v76
	v_and_b32_e32 v70, v70, v71
	v_not_b32_e32 v71, v77
	v_ashrrev_i32_e32 v75, 31, v75
	v_xor_b32_e32 v73, vcc_lo, v73
	v_cmp_gt_i32_e32 vcc_lo, 0, v77
	v_and_b32_e32 v70, v70, v72
	v_not_b32_e32 v72, v74
	v_ashrrev_i32_e32 v71, 31, v71
	v_xor_b32_e32 v75, s0, v75
	v_lshl_add_u32 v69, v69, 4, v69
	v_and_b32_e32 v70, v70, v73
	v_cmp_gt_i32_e64 s0, 0, v74
	v_ashrrev_i32_e32 v73, 31, v72
	v_xor_b32_e32 v71, vcc_lo, v71
	v_add_lshl_u32 v72, v3, v69, 2
	v_and_b32_e32 v70, v70, v75
	s_delay_alu instid0(VALU_DEP_4) | instskip(NEXT) | instid1(VALU_DEP_2)
	v_xor_b32_e32 v69, s0, v73
	v_and_b32_e32 v71, v70, v71
	ds_load_b32 v70, v72 offset:64
	; wave barrier
	v_and_b32_e32 v69, v71, v69
	s_delay_alu instid0(VALU_DEP_1) | instskip(SKIP_1) | instid1(VALU_DEP_2)
	v_mbcnt_lo_u32_b32 v71, v69, 0
	v_cmp_ne_u32_e64 s0, 0, v69
	v_cmp_eq_u32_e32 vcc_lo, 0, v71
	s_delay_alu instid0(VALU_DEP_2) | instskip(NEXT) | instid1(SALU_CYCLE_1)
	s_and_b32 s1, s0, vcc_lo
	s_and_saveexec_b32 s0, s1
	s_cbranch_execz .LBB14_255
; %bb.254:
	s_waitcnt lgkmcnt(0)
	v_bcnt_u32_b32 v69, v69, v70
	ds_store_b32 v72, v69 offset:64
.LBB14_255:
	s_or_b32 exec_lo, exec_lo, s0
	v_xor_b32_e32 v69, 0x7fffffff, v9
	; wave barrier
	s_delay_alu instid0(VALU_DEP_1) | instskip(NEXT) | instid1(VALU_DEP_1)
	v_lshrrev_b32_e32 v9, s64, v69
	v_and_b32_e32 v9, s6, v9
	s_delay_alu instid0(VALU_DEP_1)
	v_and_b32_e32 v73, 1, v9
	v_lshlrev_b32_e32 v74, 30, v9
	v_lshlrev_b32_e32 v75, 29, v9
	v_lshlrev_b32_e32 v76, 28, v9
	v_lshlrev_b32_e32 v78, 27, v9
	v_add_co_u32 v73, s0, v73, -1
	s_delay_alu instid0(VALU_DEP_1)
	v_cndmask_b32_e64 v77, 0, 1, s0
	v_not_b32_e32 v81, v74
	v_cmp_gt_i32_e64 s0, 0, v74
	v_not_b32_e32 v74, v75
	v_lshlrev_b32_e32 v79, 26, v9
	v_cmp_ne_u32_e32 vcc_lo, 0, v77
	v_ashrrev_i32_e32 v81, 31, v81
	v_lshlrev_b32_e32 v80, 25, v9
	v_ashrrev_i32_e32 v74, 31, v74
	v_lshlrev_b32_e32 v77, 24, v9
	v_xor_b32_e32 v73, vcc_lo, v73
	v_cmp_gt_i32_e32 vcc_lo, 0, v75
	v_not_b32_e32 v75, v76
	v_xor_b32_e32 v81, s0, v81
	v_cmp_gt_i32_e64 s0, 0, v76
	v_and_b32_e32 v73, exec_lo, v73
	v_not_b32_e32 v76, v78
	v_ashrrev_i32_e32 v75, 31, v75
	v_xor_b32_e32 v74, vcc_lo, v74
	v_cmp_gt_i32_e32 vcc_lo, 0, v78
	v_and_b32_e32 v73, v73, v81
	v_not_b32_e32 v78, v79
	v_ashrrev_i32_e32 v76, 31, v76
	v_xor_b32_e32 v75, s0, v75
	v_cmp_gt_i32_e64 s0, 0, v79
	v_and_b32_e32 v73, v73, v74
	v_not_b32_e32 v74, v80
	v_ashrrev_i32_e32 v78, 31, v78
	v_xor_b32_e32 v76, vcc_lo, v76
	v_cmp_gt_i32_e32 vcc_lo, 0, v80
	v_and_b32_e32 v73, v73, v75
	v_not_b32_e32 v75, v77
	v_ashrrev_i32_e32 v74, 31, v74
	v_xor_b32_e32 v78, s0, v78
	v_lshl_add_u32 v9, v9, 4, v9
	v_and_b32_e32 v73, v73, v76
	v_cmp_gt_i32_e64 s0, 0, v77
	v_ashrrev_i32_e32 v75, 31, v75
	v_xor_b32_e32 v74, vcc_lo, v74
	v_add_lshl_u32 v77, v3, v9, 2
	v_and_b32_e32 v73, v73, v78
	s_delay_alu instid0(VALU_DEP_4) | instskip(NEXT) | instid1(VALU_DEP_2)
	v_xor_b32_e32 v9, s0, v75
	v_and_b32_e32 v73, v73, v74
	ds_load_b32 v74, v77 offset:64
	; wave barrier
	v_and_b32_e32 v9, v73, v9
	s_delay_alu instid0(VALU_DEP_1) | instskip(SKIP_1) | instid1(VALU_DEP_2)
	v_mbcnt_lo_u32_b32 v75, v9, 0
	v_cmp_ne_u32_e64 s0, 0, v9
	v_cmp_eq_u32_e32 vcc_lo, 0, v75
	s_delay_alu instid0(VALU_DEP_2) | instskip(NEXT) | instid1(SALU_CYCLE_1)
	s_and_b32 s1, s0, vcc_lo
	s_and_saveexec_b32 s0, s1
	s_cbranch_execz .LBB14_257
; %bb.256:
	s_waitcnt lgkmcnt(0)
	v_bcnt_u32_b32 v9, v9, v74
	ds_store_b32 v77, v9 offset:64
.LBB14_257:
	s_or_b32 exec_lo, exec_lo, s0
	v_xor_b32_e32 v73, 0x7fffffff, v8
	; wave barrier
	s_delay_alu instid0(VALU_DEP_1) | instskip(NEXT) | instid1(VALU_DEP_1)
	v_lshrrev_b32_e32 v8, s64, v73
	v_and_b32_e32 v8, s6, v8
	s_delay_alu instid0(VALU_DEP_1)
	v_and_b32_e32 v9, 1, v8
	v_lshlrev_b32_e32 v76, 30, v8
	v_lshlrev_b32_e32 v78, 29, v8
	;; [unrolled: 1-line block ×4, first 2 shown]
	v_add_co_u32 v9, s0, v9, -1
	s_delay_alu instid0(VALU_DEP_1)
	v_cndmask_b32_e64 v80, 0, 1, s0
	v_not_b32_e32 v84, v76
	v_cmp_gt_i32_e64 s0, 0, v76
	v_not_b32_e32 v76, v78
	v_lshlrev_b32_e32 v82, 26, v8
	v_cmp_ne_u32_e32 vcc_lo, 0, v80
	v_ashrrev_i32_e32 v84, 31, v84
	v_lshlrev_b32_e32 v83, 25, v8
	v_ashrrev_i32_e32 v76, 31, v76
	v_lshlrev_b32_e32 v80, 24, v8
	v_xor_b32_e32 v9, vcc_lo, v9
	v_cmp_gt_i32_e32 vcc_lo, 0, v78
	v_not_b32_e32 v78, v79
	v_xor_b32_e32 v84, s0, v84
	v_cmp_gt_i32_e64 s0, 0, v79
	v_and_b32_e32 v9, exec_lo, v9
	v_not_b32_e32 v79, v81
	v_ashrrev_i32_e32 v78, 31, v78
	v_xor_b32_e32 v76, vcc_lo, v76
	v_cmp_gt_i32_e32 vcc_lo, 0, v81
	v_and_b32_e32 v9, v9, v84
	v_not_b32_e32 v81, v82
	v_ashrrev_i32_e32 v79, 31, v79
	v_xor_b32_e32 v78, s0, v78
	v_cmp_gt_i32_e64 s0, 0, v82
	v_and_b32_e32 v9, v9, v76
	v_not_b32_e32 v76, v83
	v_ashrrev_i32_e32 v81, 31, v81
	v_xor_b32_e32 v79, vcc_lo, v79
	v_cmp_gt_i32_e32 vcc_lo, 0, v83
	v_and_b32_e32 v9, v9, v78
	v_not_b32_e32 v78, v80
	v_ashrrev_i32_e32 v76, 31, v76
	v_xor_b32_e32 v81, s0, v81
	v_lshl_add_u32 v8, v8, 4, v8
	v_and_b32_e32 v9, v9, v79
	v_cmp_gt_i32_e64 s0, 0, v80
	v_ashrrev_i32_e32 v78, 31, v78
	v_xor_b32_e32 v76, vcc_lo, v76
	s_delay_alu instid0(VALU_DEP_4) | instskip(SKIP_1) | instid1(VALU_DEP_4)
	v_and_b32_e32 v9, v9, v81
	v_add_lshl_u32 v81, v3, v8, 2
	v_xor_b32_e32 v8, s0, v78
	s_delay_alu instid0(VALU_DEP_3) | instskip(SKIP_2) | instid1(VALU_DEP_1)
	v_and_b32_e32 v9, v9, v76
	ds_load_b32 v79, v81 offset:64
	; wave barrier
	v_and_b32_e32 v8, v9, v8
	v_mbcnt_lo_u32_b32 v80, v8, 0
	v_cmp_ne_u32_e64 s0, 0, v8
	s_delay_alu instid0(VALU_DEP_2) | instskip(NEXT) | instid1(VALU_DEP_2)
	v_cmp_eq_u32_e32 vcc_lo, 0, v80
	s_and_b32 s1, s0, vcc_lo
	s_delay_alu instid0(SALU_CYCLE_1)
	s_and_saveexec_b32 s0, s1
	s_cbranch_execz .LBB14_259
; %bb.258:
	s_waitcnt lgkmcnt(0)
	v_bcnt_u32_b32 v8, v8, v79
	ds_store_b32 v81, v8 offset:64
.LBB14_259:
	s_or_b32 exec_lo, exec_lo, s0
	v_xor_b32_e32 v78, 0x7fffffff, v7
	; wave barrier
	s_delay_alu instid0(VALU_DEP_1) | instskip(NEXT) | instid1(VALU_DEP_1)
	v_lshrrev_b32_e32 v7, s64, v78
	v_and_b32_e32 v7, s6, v7
	s_delay_alu instid0(VALU_DEP_1)
	v_and_b32_e32 v8, 1, v7
	v_lshlrev_b32_e32 v9, 30, v7
	v_lshlrev_b32_e32 v76, 29, v7
	v_lshlrev_b32_e32 v82, 28, v7
	v_lshlrev_b32_e32 v84, 27, v7
	v_add_co_u32 v8, s0, v8, -1
	s_delay_alu instid0(VALU_DEP_1)
	v_cndmask_b32_e64 v83, 0, 1, s0
	v_not_b32_e32 v87, v9
	v_cmp_gt_i32_e64 s0, 0, v9
	v_not_b32_e32 v9, v76
	v_lshlrev_b32_e32 v85, 26, v7
	v_cmp_ne_u32_e32 vcc_lo, 0, v83
	v_ashrrev_i32_e32 v87, 31, v87
	v_lshlrev_b32_e32 v86, 25, v7
	v_ashrrev_i32_e32 v9, 31, v9
	v_lshlrev_b32_e32 v83, 24, v7
	v_xor_b32_e32 v8, vcc_lo, v8
	v_cmp_gt_i32_e32 vcc_lo, 0, v76
	v_not_b32_e32 v76, v82
	v_xor_b32_e32 v87, s0, v87
	v_cmp_gt_i32_e64 s0, 0, v82
	v_and_b32_e32 v8, exec_lo, v8
	v_not_b32_e32 v82, v84
	v_ashrrev_i32_e32 v76, 31, v76
	v_xor_b32_e32 v9, vcc_lo, v9
	v_cmp_gt_i32_e32 vcc_lo, 0, v84
	v_and_b32_e32 v8, v8, v87
	v_not_b32_e32 v84, v85
	v_ashrrev_i32_e32 v82, 31, v82
	v_xor_b32_e32 v76, s0, v76
	v_cmp_gt_i32_e64 s0, 0, v85
	v_and_b32_e32 v8, v8, v9
	v_not_b32_e32 v9, v86
	v_ashrrev_i32_e32 v84, 31, v84
	v_xor_b32_e32 v82, vcc_lo, v82
	v_cmp_gt_i32_e32 vcc_lo, 0, v86
	v_and_b32_e32 v8, v8, v76
	v_not_b32_e32 v76, v83
	v_ashrrev_i32_e32 v9, 31, v9
	v_xor_b32_e32 v84, s0, v84
	v_lshl_add_u32 v7, v7, 4, v7
	v_and_b32_e32 v8, v8, v82
	v_cmp_gt_i32_e64 s0, 0, v83
	v_ashrrev_i32_e32 v76, 31, v76
	v_xor_b32_e32 v9, vcc_lo, v9
	v_add_lshl_u32 v85, v3, v7, 2
	v_and_b32_e32 v8, v8, v84
	s_delay_alu instid0(VALU_DEP_4) | instskip(SKIP_2) | instid1(VALU_DEP_1)
	v_xor_b32_e32 v7, s0, v76
	ds_load_b32 v83, v85 offset:64
	v_and_b32_e32 v8, v8, v9
	; wave barrier
	v_and_b32_e32 v7, v8, v7
	s_delay_alu instid0(VALU_DEP_1) | instskip(SKIP_1) | instid1(VALU_DEP_2)
	v_mbcnt_lo_u32_b32 v84, v7, 0
	v_cmp_ne_u32_e64 s0, 0, v7
	v_cmp_eq_u32_e32 vcc_lo, 0, v84
	s_delay_alu instid0(VALU_DEP_2) | instskip(NEXT) | instid1(SALU_CYCLE_1)
	s_and_b32 s1, s0, vcc_lo
	s_and_saveexec_b32 s0, s1
	s_cbranch_execz .LBB14_261
; %bb.260:
	s_waitcnt lgkmcnt(0)
	v_bcnt_u32_b32 v7, v7, v83
	ds_store_b32 v85, v7 offset:64
.LBB14_261:
	s_or_b32 exec_lo, exec_lo, s0
	v_xor_b32_e32 v82, 0x7fffffff, v6
	; wave barrier
	s_delay_alu instid0(VALU_DEP_1) | instskip(NEXT) | instid1(VALU_DEP_1)
	v_lshrrev_b32_e32 v6, s64, v82
	v_and_b32_e32 v6, s6, v6
	s_delay_alu instid0(VALU_DEP_1)
	v_and_b32_e32 v7, 1, v6
	v_lshlrev_b32_e32 v8, 30, v6
	v_lshlrev_b32_e32 v9, 29, v6
	;; [unrolled: 1-line block ×4, first 2 shown]
	v_add_co_u32 v7, s0, v7, -1
	s_delay_alu instid0(VALU_DEP_1)
	v_cndmask_b32_e64 v86, 0, 1, s0
	v_not_b32_e32 v90, v8
	v_cmp_gt_i32_e64 s0, 0, v8
	v_not_b32_e32 v8, v9
	v_lshlrev_b32_e32 v88, 26, v6
	v_cmp_ne_u32_e32 vcc_lo, 0, v86
	v_ashrrev_i32_e32 v90, 31, v90
	v_lshlrev_b32_e32 v89, 25, v6
	v_ashrrev_i32_e32 v8, 31, v8
	v_lshlrev_b32_e32 v86, 24, v6
	v_xor_b32_e32 v7, vcc_lo, v7
	v_cmp_gt_i32_e32 vcc_lo, 0, v9
	v_not_b32_e32 v9, v76
	v_xor_b32_e32 v90, s0, v90
	v_cmp_gt_i32_e64 s0, 0, v76
	v_and_b32_e32 v7, exec_lo, v7
	v_not_b32_e32 v76, v87
	v_ashrrev_i32_e32 v9, 31, v9
	v_xor_b32_e32 v8, vcc_lo, v8
	v_cmp_gt_i32_e32 vcc_lo, 0, v87
	v_and_b32_e32 v7, v7, v90
	v_not_b32_e32 v87, v88
	v_ashrrev_i32_e32 v76, 31, v76
	v_xor_b32_e32 v9, s0, v9
	v_cmp_gt_i32_e64 s0, 0, v88
	v_and_b32_e32 v7, v7, v8
	v_not_b32_e32 v8, v89
	v_ashrrev_i32_e32 v87, 31, v87
	v_xor_b32_e32 v76, vcc_lo, v76
	v_cmp_gt_i32_e32 vcc_lo, 0, v89
	v_and_b32_e32 v7, v7, v9
	v_not_b32_e32 v9, v86
	v_ashrrev_i32_e32 v8, 31, v8
	v_xor_b32_e32 v87, s0, v87
	v_lshl_add_u32 v6, v6, 4, v6
	v_and_b32_e32 v7, v7, v76
	v_cmp_gt_i32_e64 s0, 0, v86
	v_ashrrev_i32_e32 v9, 31, v9
	v_xor_b32_e32 v8, vcc_lo, v8
	v_add_lshl_u32 v89, v3, v6, 2
	v_and_b32_e32 v7, v7, v87
	s_delay_alu instid0(VALU_DEP_4) | instskip(SKIP_2) | instid1(VALU_DEP_1)
	v_xor_b32_e32 v6, s0, v9
	ds_load_b32 v87, v89 offset:64
	v_and_b32_e32 v7, v7, v8
	; wave barrier
	v_and_b32_e32 v6, v7, v6
	s_delay_alu instid0(VALU_DEP_1) | instskip(SKIP_1) | instid1(VALU_DEP_2)
	v_mbcnt_lo_u32_b32 v88, v6, 0
	v_cmp_ne_u32_e64 s0, 0, v6
	v_cmp_eq_u32_e32 vcc_lo, 0, v88
	s_delay_alu instid0(VALU_DEP_2) | instskip(NEXT) | instid1(SALU_CYCLE_1)
	s_and_b32 s1, s0, vcc_lo
	s_and_saveexec_b32 s0, s1
	s_cbranch_execz .LBB14_263
; %bb.262:
	s_waitcnt lgkmcnt(0)
	v_bcnt_u32_b32 v6, v6, v87
	ds_store_b32 v89, v6 offset:64
.LBB14_263:
	s_or_b32 exec_lo, exec_lo, s0
	v_xor_b32_e32 v86, 0x7fffffff, v5
	; wave barrier
	s_delay_alu instid0(VALU_DEP_1) | instskip(NEXT) | instid1(VALU_DEP_1)
	v_lshrrev_b32_e32 v5, s64, v86
	v_and_b32_e32 v5, s6, v5
	s_delay_alu instid0(VALU_DEP_1)
	v_and_b32_e32 v6, 1, v5
	v_lshlrev_b32_e32 v7, 30, v5
	v_lshlrev_b32_e32 v8, 29, v5
	;; [unrolled: 1-line block ×4, first 2 shown]
	v_add_co_u32 v6, s0, v6, -1
	s_delay_alu instid0(VALU_DEP_1)
	v_cndmask_b32_e64 v76, 0, 1, s0
	v_not_b32_e32 v93, v7
	v_cmp_gt_i32_e64 s0, 0, v7
	v_not_b32_e32 v7, v8
	v_lshlrev_b32_e32 v91, 26, v5
	v_cmp_ne_u32_e32 vcc_lo, 0, v76
	v_ashrrev_i32_e32 v93, 31, v93
	v_lshlrev_b32_e32 v92, 25, v5
	v_ashrrev_i32_e32 v7, 31, v7
	v_lshlrev_b32_e32 v76, 24, v5
	v_xor_b32_e32 v6, vcc_lo, v6
	v_cmp_gt_i32_e32 vcc_lo, 0, v8
	v_not_b32_e32 v8, v9
	v_xor_b32_e32 v93, s0, v93
	v_cmp_gt_i32_e64 s0, 0, v9
	v_and_b32_e32 v6, exec_lo, v6
	v_not_b32_e32 v9, v90
	v_ashrrev_i32_e32 v8, 31, v8
	v_xor_b32_e32 v7, vcc_lo, v7
	v_cmp_gt_i32_e32 vcc_lo, 0, v90
	v_and_b32_e32 v6, v6, v93
	v_not_b32_e32 v90, v91
	v_ashrrev_i32_e32 v9, 31, v9
	v_xor_b32_e32 v8, s0, v8
	v_cmp_gt_i32_e64 s0, 0, v91
	v_and_b32_e32 v6, v6, v7
	v_not_b32_e32 v7, v92
	v_ashrrev_i32_e32 v90, 31, v90
	v_xor_b32_e32 v9, vcc_lo, v9
	v_cmp_gt_i32_e32 vcc_lo, 0, v92
	v_and_b32_e32 v6, v6, v8
	v_not_b32_e32 v8, v76
	v_ashrrev_i32_e32 v7, 31, v7
	v_xor_b32_e32 v90, s0, v90
	v_lshl_add_u32 v5, v5, 4, v5
	v_and_b32_e32 v6, v6, v9
	v_cmp_gt_i32_e64 s0, 0, v76
	v_ashrrev_i32_e32 v8, 31, v8
	v_xor_b32_e32 v7, vcc_lo, v7
	v_add_lshl_u32 v93, v3, v5, 2
	v_and_b32_e32 v6, v6, v90
	s_delay_alu instid0(VALU_DEP_4) | instskip(SKIP_2) | instid1(VALU_DEP_1)
	v_xor_b32_e32 v5, s0, v8
	ds_load_b32 v91, v93 offset:64
	v_and_b32_e32 v6, v6, v7
	; wave barrier
	v_and_b32_e32 v5, v6, v5
	s_delay_alu instid0(VALU_DEP_1) | instskip(SKIP_1) | instid1(VALU_DEP_2)
	v_mbcnt_lo_u32_b32 v92, v5, 0
	v_cmp_ne_u32_e64 s0, 0, v5
	v_cmp_eq_u32_e32 vcc_lo, 0, v92
	s_delay_alu instid0(VALU_DEP_2) | instskip(NEXT) | instid1(SALU_CYCLE_1)
	s_and_b32 s1, s0, vcc_lo
	s_and_saveexec_b32 s0, s1
	s_cbranch_execz .LBB14_265
; %bb.264:
	s_waitcnt lgkmcnt(0)
	v_bcnt_u32_b32 v5, v5, v91
	ds_store_b32 v93, v5 offset:64
.LBB14_265:
	s_or_b32 exec_lo, exec_lo, s0
	v_xor_b32_e32 v90, 0x7fffffff, v4
	; wave barrier
	s_delay_alu instid0(VALU_DEP_1) | instskip(NEXT) | instid1(VALU_DEP_1)
	v_lshrrev_b32_e32 v4, s64, v90
	v_and_b32_e32 v4, s6, v4
	s_delay_alu instid0(VALU_DEP_1)
	v_and_b32_e32 v5, 1, v4
	v_lshlrev_b32_e32 v6, 30, v4
	v_lshlrev_b32_e32 v7, 29, v4
	;; [unrolled: 1-line block ×4, first 2 shown]
	v_add_co_u32 v5, s0, v5, -1
	s_delay_alu instid0(VALU_DEP_1)
	v_cndmask_b32_e64 v9, 0, 1, s0
	v_not_b32_e32 v96, v6
	v_cmp_gt_i32_e64 s0, 0, v6
	v_not_b32_e32 v6, v7
	v_lshlrev_b32_e32 v94, 26, v4
	v_cmp_ne_u32_e32 vcc_lo, 0, v9
	v_ashrrev_i32_e32 v96, 31, v96
	v_lshlrev_b32_e32 v95, 25, v4
	v_ashrrev_i32_e32 v6, 31, v6
	v_lshlrev_b32_e32 v9, 24, v4
	v_xor_b32_e32 v5, vcc_lo, v5
	v_cmp_gt_i32_e32 vcc_lo, 0, v7
	v_not_b32_e32 v7, v8
	v_xor_b32_e32 v96, s0, v96
	v_cmp_gt_i32_e64 s0, 0, v8
	v_and_b32_e32 v5, exec_lo, v5
	v_not_b32_e32 v8, v76
	v_ashrrev_i32_e32 v7, 31, v7
	v_xor_b32_e32 v6, vcc_lo, v6
	v_cmp_gt_i32_e32 vcc_lo, 0, v76
	v_and_b32_e32 v5, v5, v96
	v_not_b32_e32 v76, v94
	v_ashrrev_i32_e32 v8, 31, v8
	v_xor_b32_e32 v7, s0, v7
	v_cmp_gt_i32_e64 s0, 0, v94
	v_and_b32_e32 v5, v5, v6
	v_not_b32_e32 v6, v95
	v_ashrrev_i32_e32 v76, 31, v76
	v_xor_b32_e32 v8, vcc_lo, v8
	v_cmp_gt_i32_e32 vcc_lo, 0, v95
	v_and_b32_e32 v5, v5, v7
	v_not_b32_e32 v7, v9
	v_ashrrev_i32_e32 v6, 31, v6
	v_xor_b32_e32 v76, s0, v76
	v_lshl_add_u32 v4, v4, 4, v4
	v_and_b32_e32 v5, v5, v8
	v_cmp_gt_i32_e64 s0, 0, v9
	v_ashrrev_i32_e32 v7, 31, v7
	v_xor_b32_e32 v6, vcc_lo, v6
	v_add_lshl_u32 v97, v3, v4, 2
	v_and_b32_e32 v5, v5, v76
	s_delay_alu instid0(VALU_DEP_4) | instskip(SKIP_2) | instid1(VALU_DEP_1)
	v_xor_b32_e32 v4, s0, v7
	ds_load_b32 v95, v97 offset:64
	v_and_b32_e32 v5, v5, v6
	; wave barrier
	v_and_b32_e32 v4, v5, v4
	s_delay_alu instid0(VALU_DEP_1) | instskip(SKIP_1) | instid1(VALU_DEP_2)
	v_mbcnt_lo_u32_b32 v96, v4, 0
	v_cmp_ne_u32_e64 s0, 0, v4
	v_cmp_eq_u32_e32 vcc_lo, 0, v96
	s_delay_alu instid0(VALU_DEP_2) | instskip(NEXT) | instid1(SALU_CYCLE_1)
	s_and_b32 s1, s0, vcc_lo
	s_and_saveexec_b32 s0, s1
	s_cbranch_execz .LBB14_267
; %bb.266:
	s_waitcnt lgkmcnt(0)
	v_bcnt_u32_b32 v4, v4, v95
	ds_store_b32 v97, v4 offset:64
.LBB14_267:
	s_or_b32 exec_lo, exec_lo, s0
	v_xor_b32_e32 v94, 0x7fffffff, v2
	; wave barrier
	v_add_nc_u32_e32 v101, 64, v15
	s_delay_alu instid0(VALU_DEP_2) | instskip(NEXT) | instid1(VALU_DEP_1)
	v_lshrrev_b32_e32 v2, s64, v94
	v_and_b32_e32 v2, s6, v2
	s_delay_alu instid0(VALU_DEP_1)
	v_and_b32_e32 v4, 1, v2
	v_lshlrev_b32_e32 v5, 30, v2
	v_lshlrev_b32_e32 v6, 29, v2
	;; [unrolled: 1-line block ×4, first 2 shown]
	v_add_co_u32 v4, s0, v4, -1
	s_delay_alu instid0(VALU_DEP_1)
	v_cndmask_b32_e64 v8, 0, 1, s0
	v_not_b32_e32 v99, v5
	v_cmp_gt_i32_e64 s0, 0, v5
	v_not_b32_e32 v5, v6
	v_lshlrev_b32_e32 v76, 26, v2
	v_cmp_ne_u32_e32 vcc_lo, 0, v8
	v_ashrrev_i32_e32 v99, 31, v99
	v_lshlrev_b32_e32 v98, 25, v2
	v_ashrrev_i32_e32 v5, 31, v5
	v_lshlrev_b32_e32 v8, 24, v2
	v_xor_b32_e32 v4, vcc_lo, v4
	v_cmp_gt_i32_e32 vcc_lo, 0, v6
	v_not_b32_e32 v6, v7
	v_xor_b32_e32 v99, s0, v99
	v_cmp_gt_i32_e64 s0, 0, v7
	v_and_b32_e32 v4, exec_lo, v4
	v_not_b32_e32 v7, v9
	v_ashrrev_i32_e32 v6, 31, v6
	v_xor_b32_e32 v5, vcc_lo, v5
	v_cmp_gt_i32_e32 vcc_lo, 0, v9
	v_and_b32_e32 v4, v4, v99
	v_not_b32_e32 v9, v76
	v_ashrrev_i32_e32 v7, 31, v7
	v_xor_b32_e32 v6, s0, v6
	v_cmp_gt_i32_e64 s0, 0, v76
	v_and_b32_e32 v4, v4, v5
	v_not_b32_e32 v5, v98
	v_ashrrev_i32_e32 v9, 31, v9
	v_xor_b32_e32 v7, vcc_lo, v7
	v_cmp_gt_i32_e32 vcc_lo, 0, v98
	v_and_b32_e32 v4, v4, v6
	v_not_b32_e32 v6, v8
	v_ashrrev_i32_e32 v5, 31, v5
	v_xor_b32_e32 v9, s0, v9
	v_lshl_add_u32 v2, v2, 4, v2
	v_and_b32_e32 v4, v4, v7
	v_cmp_gt_i32_e64 s0, 0, v8
	v_ashrrev_i32_e32 v6, 31, v6
	v_xor_b32_e32 v5, vcc_lo, v5
	v_add_lshl_u32 v100, v3, v2, 2
	v_and_b32_e32 v4, v4, v9
	s_delay_alu instid0(VALU_DEP_4) | instskip(SKIP_2) | instid1(VALU_DEP_1)
	v_xor_b32_e32 v2, s0, v6
	ds_load_b32 v98, v100 offset:64
	v_and_b32_e32 v3, v4, v5
	; wave barrier
	v_and_b32_e32 v2, v3, v2
	s_delay_alu instid0(VALU_DEP_1) | instskip(SKIP_1) | instid1(VALU_DEP_2)
	v_mbcnt_lo_u32_b32 v99, v2, 0
	v_cmp_ne_u32_e64 s0, 0, v2
	v_cmp_eq_u32_e32 vcc_lo, 0, v99
	s_delay_alu instid0(VALU_DEP_2) | instskip(NEXT) | instid1(SALU_CYCLE_1)
	s_and_b32 s1, s0, vcc_lo
	s_and_saveexec_b32 s0, s1
	s_cbranch_execz .LBB14_269
; %bb.268:
	s_waitcnt lgkmcnt(0)
	v_bcnt_u32_b32 v2, v2, v98
	ds_store_b32 v100, v2 offset:64
.LBB14_269:
	s_or_b32 exec_lo, exec_lo, s0
	; wave barrier
	s_waitcnt lgkmcnt(0)
	s_barrier
	buffer_gl0_inv
	ds_load_2addr_b32 v[8:9], v15 offset0:16 offset1:17
	ds_load_2addr_b32 v[6:7], v101 offset0:2 offset1:3
	;; [unrolled: 1-line block ×4, first 2 shown]
	ds_load_b32 v76, v101 offset:32
	v_min_u32_e32 v13, 0x1e0, v13
	s_mov_b32 s7, exec_lo
	s_delay_alu instid0(VALU_DEP_1) | instskip(SKIP_3) | instid1(VALU_DEP_1)
	v_or_b32_e32 v104, 31, v13
	s_waitcnt lgkmcnt(3)
	v_add3_u32 v102, v9, v8, v6
	s_waitcnt lgkmcnt(2)
	v_add3_u32 v102, v102, v7, v4
	s_waitcnt lgkmcnt(1)
	s_delay_alu instid0(VALU_DEP_1) | instskip(SKIP_1) | instid1(VALU_DEP_1)
	v_add3_u32 v102, v102, v5, v2
	s_waitcnt lgkmcnt(0)
	v_add3_u32 v76, v102, v3, v76
	v_and_b32_e32 v102, 15, v11
	s_delay_alu instid0(VALU_DEP_2) | instskip(NEXT) | instid1(VALU_DEP_2)
	v_mov_b32_dpp v103, v76 row_shr:1 row_mask:0xf bank_mask:0xf
	v_cmp_eq_u32_e32 vcc_lo, 0, v102
	v_cmp_lt_u32_e64 s0, 1, v102
	v_cmp_lt_u32_e64 s1, 3, v102
	;; [unrolled: 1-line block ×3, first 2 shown]
	v_cndmask_b32_e64 v103, v103, 0, vcc_lo
	s_delay_alu instid0(VALU_DEP_1) | instskip(NEXT) | instid1(VALU_DEP_1)
	v_add_nc_u32_e32 v76, v103, v76
	v_mov_b32_dpp v103, v76 row_shr:2 row_mask:0xf bank_mask:0xf
	s_delay_alu instid0(VALU_DEP_1) | instskip(NEXT) | instid1(VALU_DEP_1)
	v_cndmask_b32_e64 v103, 0, v103, s0
	v_add_nc_u32_e32 v76, v76, v103
	s_delay_alu instid0(VALU_DEP_1) | instskip(NEXT) | instid1(VALU_DEP_1)
	v_mov_b32_dpp v103, v76 row_shr:4 row_mask:0xf bank_mask:0xf
	v_cndmask_b32_e64 v103, 0, v103, s1
	s_delay_alu instid0(VALU_DEP_1) | instskip(NEXT) | instid1(VALU_DEP_1)
	v_add_nc_u32_e32 v76, v76, v103
	v_mov_b32_dpp v103, v76 row_shr:8 row_mask:0xf bank_mask:0xf
	s_delay_alu instid0(VALU_DEP_1) | instskip(SKIP_1) | instid1(VALU_DEP_2)
	v_cndmask_b32_e64 v102, 0, v103, s2
	v_bfe_i32 v103, v11, 4, 1
	v_add_nc_u32_e32 v76, v76, v102
	ds_swizzle_b32 v102, v76 offset:swizzle(BROADCAST,32,15)
	s_waitcnt lgkmcnt(0)
	v_and_b32_e32 v103, v103, v102
	v_lshrrev_b32_e32 v102, 5, v1
	s_delay_alu instid0(VALU_DEP_2)
	v_add_nc_u32_e32 v13, v76, v103
	v_cmpx_eq_u32_e64 v104, v1
	s_cbranch_execz .LBB14_271
; %bb.270:
	s_delay_alu instid0(VALU_DEP_3)
	v_lshlrev_b32_e32 v76, 2, v102
	ds_store_b32 v76, v13
.LBB14_271:
	s_or_b32 exec_lo, exec_lo, s7
	v_lshlrev_b32_e32 v76, 2, v1
	s_mov_b32 s7, exec_lo
	s_waitcnt lgkmcnt(0)
	s_barrier
	buffer_gl0_inv
	v_cmpx_gt_u32_e32 16, v1
	s_cbranch_execz .LBB14_273
; %bb.272:
	ds_load_b32 v103, v76
	s_waitcnt lgkmcnt(0)
	v_mov_b32_dpp v104, v103 row_shr:1 row_mask:0xf bank_mask:0xf
	s_delay_alu instid0(VALU_DEP_1) | instskip(NEXT) | instid1(VALU_DEP_1)
	v_cndmask_b32_e64 v104, v104, 0, vcc_lo
	v_add_nc_u32_e32 v103, v104, v103
	s_delay_alu instid0(VALU_DEP_1) | instskip(NEXT) | instid1(VALU_DEP_1)
	v_mov_b32_dpp v104, v103 row_shr:2 row_mask:0xf bank_mask:0xf
	v_cndmask_b32_e64 v104, 0, v104, s0
	s_delay_alu instid0(VALU_DEP_1) | instskip(NEXT) | instid1(VALU_DEP_1)
	v_add_nc_u32_e32 v103, v103, v104
	v_mov_b32_dpp v104, v103 row_shr:4 row_mask:0xf bank_mask:0xf
	s_delay_alu instid0(VALU_DEP_1) | instskip(NEXT) | instid1(VALU_DEP_1)
	v_cndmask_b32_e64 v104, 0, v104, s1
	v_add_nc_u32_e32 v103, v103, v104
	s_delay_alu instid0(VALU_DEP_1) | instskip(NEXT) | instid1(VALU_DEP_1)
	v_mov_b32_dpp v104, v103 row_shr:8 row_mask:0xf bank_mask:0xf
	v_cndmask_b32_e64 v104, 0, v104, s2
	s_delay_alu instid0(VALU_DEP_1)
	v_add_nc_u32_e32 v103, v103, v104
	ds_store_b32 v76, v103
.LBB14_273:
	s_or_b32 exec_lo, exec_lo, s7
	v_mov_b32_e32 v103, 0
	s_mov_b32 s0, exec_lo
	s_waitcnt lgkmcnt(0)
	s_barrier
	buffer_gl0_inv
	v_cmpx_lt_u32_e32 31, v1
	s_cbranch_execz .LBB14_275
; %bb.274:
	v_lshl_add_u32 v102, v102, 2, -4
	ds_load_b32 v103, v102
.LBB14_275:
	s_or_b32 exec_lo, exec_lo, s0
	v_add_nc_u32_e32 v102, -1, v11
	v_cmp_lt_u32_e64 s0, 0xff, v1
	s_waitcnt lgkmcnt(0)
	v_add_nc_u32_e32 v13, v103, v13
	s_delay_alu instid0(VALU_DEP_3) | instskip(SKIP_2) | instid1(VALU_DEP_2)
	v_cmp_gt_i32_e32 vcc_lo, 0, v102
	v_cndmask_b32_e32 v102, v102, v11, vcc_lo
	v_cmp_eq_u32_e32 vcc_lo, 0, v11
	v_lshlrev_b32_e32 v102, 2, v102
	ds_bpermute_b32 v13, v102, v13
	s_waitcnt lgkmcnt(0)
	v_cndmask_b32_e32 v13, v13, v103, vcc_lo
	v_cmp_ne_u32_e32 vcc_lo, 0, v1
	s_delay_alu instid0(VALU_DEP_2) | instskip(SKIP_1) | instid1(VALU_DEP_2)
	v_cndmask_b32_e32 v13, 0, v13, vcc_lo
	v_cmp_gt_u32_e32 vcc_lo, 0x100, v1
	v_add_nc_u32_e32 v8, v13, v8
	s_delay_alu instid0(VALU_DEP_1) | instskip(NEXT) | instid1(VALU_DEP_1)
	v_add_nc_u32_e32 v9, v8, v9
	v_add_nc_u32_e32 v6, v9, v6
	s_delay_alu instid0(VALU_DEP_1) | instskip(NEXT) | instid1(VALU_DEP_1)
	v_add_nc_u32_e32 v7, v6, v7
	;; [unrolled: 3-line block ×3, first 2 shown]
	v_add_nc_u32_e32 v2, v5, v2
	s_delay_alu instid0(VALU_DEP_1)
	v_add_nc_u32_e32 v3, v2, v3
	ds_store_2addr_b32 v15, v13, v8 offset0:16 offset1:17
	ds_store_2addr_b32 v101, v9, v6 offset0:2 offset1:3
	;; [unrolled: 1-line block ×4, first 2 shown]
	ds_store_b32 v101, v3 offset:32
	s_waitcnt lgkmcnt(0)
	s_barrier
	buffer_gl0_inv
	ds_load_b32 v2, v16 offset:64
	ds_load_b32 v5, v20 offset:64
	;; [unrolled: 1-line block ×22, first 2 shown]
	v_mov_b32_e32 v3, 0
	v_mov_b32_e32 v4, 0
                                        ; implicit-def: $vgpr13
	s_and_saveexec_b32 s2, vcc_lo
	s_cbranch_execz .LBB14_279
; %bb.276:
	v_mul_u32_u24_e32 v3, 17, v1
	s_mov_b32 s3, exec_lo
	s_delay_alu instid0(VALU_DEP_1)
	v_dual_mov_b32 v4, 0x2c00 :: v_dual_lshlrev_b32 v13, 2, v3
	ds_load_b32 v3, v13 offset:64
	v_cmpx_ne_u32_e32 0xff, v1
	s_cbranch_execz .LBB14_278
; %bb.277:
	ds_load_b32 v4, v13 offset:132
.LBB14_278:
	s_or_b32 exec_lo, exec_lo, s3
	s_waitcnt lgkmcnt(0)
	v_sub_nc_u32_e32 v13, v4, v3
	v_mov_b32_e32 v4, 0
.LBB14_279:
	s_or_b32 exec_lo, exec_lo, s2
	s_waitcnt lgkmcnt(21)
	v_add_nc_u32_e32 v14, v2, v14
	s_waitcnt lgkmcnt(20)
	v_add3_u32 v15, v19, v18, v5
	s_waitcnt lgkmcnt(19)
	v_add3_u32 v16, v23, v22, v6
	;; [unrolled: 2-line block ×4, first 2 shown]
	v_lshlrev_b32_e32 v2, 2, v14
	v_lshlrev_b32_e32 v5, 2, v15
	s_waitcnt lgkmcnt(16)
	v_add3_u32 v20, v35, v34, v9
	s_waitcnt lgkmcnt(15)
	v_add3_u32 v22, v39, v38, v24
	;; [unrolled: 2-line block ×3, first 2 shown]
	s_waitcnt lgkmcnt(0)
	s_barrier
	buffer_gl0_inv
	ds_store_b32 v2, v10 offset:2048
	ds_store_b32 v5, v0 offset:2048
	v_lshlrev_b32_e32 v0, 2, v16
	v_add3_u32 v24, v47, v46, v32
	v_lshlrev_b32_e32 v2, 2, v18
	v_add3_u32 v26, v52, v51, v36
	;; [unrolled: 2-line block ×5, first 2 shown]
	ds_store_b32 v0, v17 offset:2048
	ds_store_b32 v2, v21 offset:2048
	;; [unrolled: 1-line block ×5, first 2 shown]
	v_lshlrev_b32_e32 v0, 2, v23
	v_add3_u32 v31, v67, v66, v53
	v_lshlrev_b32_e32 v2, 2, v24
	v_add3_u32 v32, v71, v70, v58
	v_lshlrev_b32_e32 v5, 2, v26
	v_add3_u32 v34, v75, v74, v62
	v_lshlrev_b32_e32 v6, 2, v27
	v_add3_u32 v35, v80, v79, v65
	v_lshlrev_b32_e32 v7, 2, v28
	v_add3_u32 v36, v84, v83, v68
	v_add3_u32 v38, v88, v87, v72
	ds_store_b32 v0, v37 offset:2048
	ds_store_b32 v2, v41 offset:2048
	;; [unrolled: 1-line block ×5, first 2 shown]
	v_lshlrev_b32_e32 v0, 2, v30
	v_lshlrev_b32_e32 v2, 2, v31
	v_add3_u32 v39, v92, v91, v77
	v_lshlrev_b32_e32 v5, 2, v32
	v_add3_u32 v40, v96, v95, v81
	;; [unrolled: 2-line block ×3, first 2 shown]
	v_lshlrev_b32_e32 v7, 2, v35
	ds_store_b32 v0, v59 offset:2048
	ds_store_b32 v2, v54 offset:2048
	;; [unrolled: 1-line block ×5, first 2 shown]
	v_lshlrev_b32_e32 v0, 2, v36
	v_lshlrev_b32_e32 v2, 2, v38
	v_lshlrev_b32_e32 v5, 2, v39
	v_lshlrev_b32_e32 v6, 2, v40
	v_lshlrev_b32_e32 v7, 2, v42
	ds_store_b32 v0, v78 offset:2048
	ds_store_b32 v2, v82 offset:2048
	;; [unrolled: 1-line block ×5, first 2 shown]
	s_waitcnt lgkmcnt(0)
	s_barrier
	buffer_gl0_inv
	s_and_saveexec_b32 s1, s0
	s_delay_alu instid0(SALU_CYCLE_1)
	s_xor_b32 s0, exec_lo, s1
; %bb.280:
	v_mov_b32_e32 v2, 0
; %bb.281:
	s_and_not1_saveexec_b32 s1, s0
	s_cbranch_execz .LBB14_291
; %bb.282:
	v_lshl_or_b32 v7, s15, 8, v1
	v_mov_b32_e32 v8, 0
	v_or_b32_e32 v2, 2.0, v13
	v_mov_b32_e32 v0, 0
	s_mov_b32 s2, 0
	s_mov_b32 s3, s15
	v_lshlrev_b64 v[5:6], 2, v[7:8]
	s_delay_alu instid0(VALU_DEP_1) | instskip(NEXT) | instid1(VALU_DEP_1)
	v_add_co_u32 v5, s0, s68, v5
	v_add_co_ci_u32_e64 v6, s0, s69, v6, s0
                                        ; implicit-def: $sgpr0
	global_store_b32 v[5:6], v2, off
	s_branch .LBB14_285
	.p2align	6
.LBB14_283:                             ;   in Loop: Header=BB14_285 Depth=1
	s_or_b32 exec_lo, exec_lo, s8
.LBB14_284:                             ;   in Loop: Header=BB14_285 Depth=1
	s_delay_alu instid0(SALU_CYCLE_1) | instskip(SKIP_2) | instid1(VALU_DEP_2)
	s_or_b32 exec_lo, exec_lo, s7
	v_and_b32_e32 v7, 0x3fffffff, v7
	v_cmp_eq_u32_e64 s0, 0x80000000, v2
	v_add_nc_u32_e32 v0, v7, v0
	s_delay_alu instid0(VALU_DEP_2) | instskip(NEXT) | instid1(SALU_CYCLE_1)
	s_and_b32 s7, exec_lo, s0
	s_or_b32 s2, s7, s2
	s_delay_alu instid0(SALU_CYCLE_1)
	s_and_not1_b32 exec_lo, exec_lo, s2
	s_cbranch_execz .LBB14_290
.LBB14_285:                             ; =>This Loop Header: Depth=1
                                        ;     Child Loop BB14_288 Depth 2
	s_or_b32 s0, s0, exec_lo
	s_cmp_eq_u32 s3, 0
	s_cbranch_scc1 .LBB14_289
; %bb.286:                              ;   in Loop: Header=BB14_285 Depth=1
	s_add_i32 s3, s3, -1
	s_mov_b32 s7, exec_lo
	v_lshl_or_b32 v7, s3, 8, v1
	s_delay_alu instid0(VALU_DEP_1) | instskip(NEXT) | instid1(VALU_DEP_1)
	v_lshlrev_b64 v[9:10], 2, v[7:8]
	v_add_co_u32 v9, s0, s68, v9
	s_delay_alu instid0(VALU_DEP_1) | instskip(SKIP_3) | instid1(VALU_DEP_1)
	v_add_co_ci_u32_e64 v10, s0, s69, v10, s0
	global_load_b32 v7, v[9:10], off glc
	s_waitcnt vmcnt(0)
	v_and_b32_e32 v2, -2.0, v7
	v_cmpx_eq_u32_e32 0, v2
	s_cbranch_execz .LBB14_284
; %bb.287:                              ;   in Loop: Header=BB14_285 Depth=1
	s_mov_b32 s8, 0
.LBB14_288:                             ;   Parent Loop BB14_285 Depth=1
                                        ; =>  This Inner Loop Header: Depth=2
	global_load_b32 v7, v[9:10], off glc
	s_waitcnt vmcnt(0)
	v_and_b32_e32 v2, -2.0, v7
	s_delay_alu instid0(VALU_DEP_1) | instskip(NEXT) | instid1(VALU_DEP_1)
	v_cmp_ne_u32_e64 s0, 0, v2
	s_or_b32 s8, s0, s8
	s_delay_alu instid0(SALU_CYCLE_1)
	s_and_not1_b32 exec_lo, exec_lo, s8
	s_cbranch_execnz .LBB14_288
	s_branch .LBB14_283
.LBB14_289:                             ;   in Loop: Header=BB14_285 Depth=1
                                        ; implicit-def: $sgpr3
	s_and_b32 s7, exec_lo, s0
	s_delay_alu instid0(SALU_CYCLE_1) | instskip(NEXT) | instid1(SALU_CYCLE_1)
	s_or_b32 s2, s7, s2
	s_and_not1_b32 exec_lo, exec_lo, s2
	s_cbranch_execnz .LBB14_285
.LBB14_290:
	s_or_b32 exec_lo, exec_lo, s2
	v_add_nc_u32_e32 v2, v0, v13
	v_lshlrev_b32_e32 v7, 3, v1
	v_sub_co_u32 v0, s0, v0, v3
	s_delay_alu instid0(VALU_DEP_3)
	v_or_b32_e32 v2, 0x80000000, v2
	global_store_b32 v[5:6], v2, off
	global_load_b64 v[5:6], v7, s[60:61]
	v_sub_co_ci_u32_e64 v2, s0, 0, v4, s0
	s_waitcnt vmcnt(0)
	v_add_co_u32 v5, s0, v0, v5
	s_delay_alu instid0(VALU_DEP_1)
	v_add_co_ci_u32_e64 v6, s0, v2, v6, s0
	v_mov_b32_e32 v2, 0
	ds_store_b64 v7, v[5:6]
.LBB14_291:
	s_or_b32 exec_lo, exec_lo, s1
	s_waitcnt lgkmcnt(0)
	s_waitcnt_vscnt null, 0x0
	s_barrier
	buffer_gl0_inv
	ds_load_2addr_stride64_b32 v[5:6], v76 offset0:16 offset1:24
	ds_load_2addr_stride64_b32 v[7:8], v76 offset0:32 offset1:40
	;; [unrolled: 1-line block ×3, first 2 shown]
	v_lshlrev_b32_e32 v0, 2, v1
	v_lshlrev_b64 v[52:53], 2, v[1:2]
	v_add_nc_u32_e32 v33, 0x1800, v76
	v_add_nc_u32_e32 v70, 0x1e00, v1
	;; [unrolled: 1-line block ×3, first 2 shown]
	ds_load_b32 v17, v0 offset:2048
	s_waitcnt lgkmcnt(3)
	v_lshrrev_b32_e32 v0, s64, v5
	s_waitcnt lgkmcnt(2)
	v_lshrrev_b32_e32 v21, s64, v7
	;; [unrolled: 2-line block ×3, first 2 shown]
	v_lshrrev_b32_e32 v41, s64, v6
	v_lshrrev_b32_e32 v47, s64, v8
	v_and_b32_e32 v0, s6, v0
	v_and_b32_e32 v21, s6, v21
	;; [unrolled: 1-line block ×3, first 2 shown]
	v_lshrrev_b32_e32 v48, s64, v10
	v_and_b32_e32 v41, s6, v41
	v_lshlrev_b32_e32 v37, 3, v0
	v_lshlrev_b32_e32 v29, 3, v21
	s_waitcnt lgkmcnt(0)
	v_lshrrev_b32_e32 v21, s64, v17
	v_lshlrev_b32_e32 v0, 3, v25
	ds_load_b64 v[43:44], v37
	ds_load_b64 v[45:46], v29
	;; [unrolled: 1-line block ×3, first 2 shown]
	v_and_b32_e32 v21, s6, v21
	v_xor_b32_e32 v62, 0x7fffffff, v7
	ds_load_2addr_stride64_b32 v[54:55], v76 offset0:64 offset1:72
	v_or_b32_e32 v25, 0x1000, v76
	v_xor_b32_e32 v17, 0x7fffffff, v17
	v_lshlrev_b32_e32 v49, 3, v21
	v_xor_b32_e32 v21, 0x7fffffff, v5
	v_and_b32_e32 v5, s6, v47
	v_and_b32_e32 v47, s6, v48
	v_lshlrev_b32_e32 v48, 3, v41
	ds_load_b64 v[56:57], v49
	v_xor_b32_e32 v41, 0x7fffffff, v6
	v_lshlrev_b32_e32 v6, 3, v5
	v_lshlrev_b32_e32 v5, 3, v47
	ds_load_b64 v[58:59], v48
	v_xor_b32_e32 v47, 0x7fffffff, v8
	s_waitcnt lgkmcnt(5)
	v_lshlrev_b64 v[7:8], 2, v[43:44]
	s_waitcnt lgkmcnt(4)
	v_lshlrev_b64 v[45:46], 2, v[45:46]
	ds_load_b64 v[43:44], v6
	ds_load_b64 v[60:61], v5
	v_add_co_u32 v63, s0, s54, v7
	s_delay_alu instid0(VALU_DEP_1) | instskip(SKIP_1) | instid1(VALU_DEP_1)
	v_add_co_ci_u32_e64 v64, s0, s55, v8, s0
	v_add_co_u32 v65, s0, s54, v45
	v_add_co_ci_u32_e64 v66, s0, s55, v46, s0
	s_waitcnt lgkmcnt(3)
	v_lshlrev_b64 v[7:8], 2, v[56:57]
	v_add_co_u32 v45, s0, v63, v52
	s_waitcnt lgkmcnt(2)
	v_lshlrev_b64 v[56:57], 2, v[58:59]
	v_add_co_ci_u32_e64 v46, s0, v64, v53, s0
	s_delay_alu instid0(VALU_DEP_4) | instskip(NEXT) | instid1(VALU_DEP_1)
	v_add_co_u32 v7, s0, s54, v7
	v_add_co_ci_u32_e64 v8, s0, s55, v8, s0
	s_delay_alu instid0(VALU_DEP_4) | instskip(NEXT) | instid1(VALU_DEP_1)
	v_add_co_u32 v56, s0, s54, v56
	;; [unrolled: 3-line block ×3, first 2 shown]
	v_add_co_ci_u32_e64 v8, s0, v8, v53, s0
	s_delay_alu instid0(VALU_DEP_4) | instskip(SKIP_4) | instid1(VALU_DEP_1)
	v_add_co_u32 v52, s0, v56, v25
	s_waitcnt lgkmcnt(1)
	v_lshlrev_b64 v[43:44], 2, v[43:44]
	v_add_co_ci_u32_e64 v53, s0, 0, v57, s0
	v_add_co_u32 v56, s0, v65, v33
	v_add_co_ci_u32_e64 v57, s0, 0, v66, s0
	s_clause 0x3
	global_store_b32 v[7:8], v17, off
	global_store_b32 v[45:46], v21, off offset:2048
	global_store_b32 v[52:53], v41, off
	global_store_b32 v[56:57], v62, off
	v_add_co_u32 v17, s0, s54, v43
	v_or_b32_e32 v25, 0x2000, v76
	v_add_co_ci_u32_e64 v21, s0, s55, v44, s0
	v_lshrrev_b32_e32 v33, s64, v54
	ds_load_2addr_stride64_b32 v[43:44], v76 offset0:80 offset1:88
	v_add_co_u32 v45, s0, v17, v25
	v_lshlrev_b64 v[7:8], 2, v[50:51]
	v_add_co_ci_u32_e64 v46, s0, 0, v21, s0
	v_and_b32_e32 v21, s6, v33
	v_xor_b32_e32 v17, 0x7fffffff, v9
	v_add_nc_u32_e32 v9, 0x2800, v76
	v_add_co_u32 v25, s0, s54, v7
	s_delay_alu instid0(VALU_DEP_4) | instskip(SKIP_2) | instid1(VALU_DEP_4)
	v_lshlrev_b32_e32 v7, 3, v21
	v_lshrrev_b32_e32 v21, s64, v55
	v_add_co_ci_u32_e64 v8, s0, s55, v8, s0
	v_add_co_u32 v50, s0, v25, v9
	ds_load_b64 v[52:53], v7
	v_and_b32_e32 v21, s6, v21
	v_add_co_ci_u32_e64 v51, s0, 0, v8, s0
	s_waitcnt lgkmcnt(2)
	v_lshlrev_b64 v[8:9], 2, v[60:61]
	s_waitcnt lgkmcnt(1)
	v_lshrrev_b32_e32 v25, s64, v43
	v_lshrrev_b32_e32 v33, s64, v44
	v_xor_b32_e32 v41, 0x7fffffff, v10
	v_lshlrev_b32_e32 v10, 3, v21
	v_or_b32_e32 v58, 0x3000, v76
	v_and_b32_e32 v21, s6, v25
	v_and_b32_e32 v25, s6, v33
	v_add_co_u32 v33, s0, s54, v8
	ds_load_b64 v[56:57], v10
	v_add_co_ci_u32_e64 v59, s0, s55, v9, s0
	v_lshlrev_b32_e32 v8, 3, v21
	v_add_co_u32 v58, s0, v33, v58
	v_lshlrev_b32_e32 v9, 3, v25
	s_delay_alu instid0(VALU_DEP_4)
	v_add_co_ci_u32_e64 v59, s0, 0, v59, s0
	ds_load_b64 v[60:61], v8
	ds_load_b64 v[62:63], v9
	s_waitcnt lgkmcnt(3)
	v_lshlrev_b64 v[52:53], 2, v[52:53]
	s_clause 0x2
	global_store_b32 v[45:46], v47, off
	global_store_b32 v[50:51], v17, off
	global_store_b32 v[58:59], v41, off
	ds_load_2addr_stride64_b32 v[50:51], v76 offset0:96 offset1:104
	v_add_nc_u32_e32 v41, 0x3800, v76
	v_or_b32_e32 v17, 0x1000, v1
	v_xor_b32_e32 v21, 0x7fffffff, v54
	v_add_co_u32 v25, s0, s54, v52
	s_delay_alu instid0(VALU_DEP_1) | instskip(SKIP_2) | instid1(VALU_DEP_3)
	v_add_co_ci_u32_e64 v33, s0, s55, v53, s0
	s_waitcnt lgkmcnt(3)
	v_lshlrev_b64 v[45:46], 2, v[56:57]
	v_add_co_u32 v52, s0, v25, v41
	s_delay_alu instid0(VALU_DEP_1) | instskip(SKIP_1) | instid1(VALU_DEP_4)
	v_add_co_ci_u32_e64 v53, s0, 0, v33, s0
	v_lshlrev_b32_e32 v25, 2, v17
	v_add_co_u32 v33, s0, s54, v45
	global_store_b32 v[52:53], v21, off
	ds_load_2addr_stride64_b32 v[52:53], v76 offset0:112 offset1:120
	v_add_co_ci_u32_e64 v41, s0, s55, v46, s0
	v_add_co_u32 v45, s0, v33, v25
	s_waitcnt lgkmcnt(1)
	v_lshrrev_b32_e32 v33, s64, v50
	v_xor_b32_e32 v47, 0x7fffffff, v55
	v_add_co_ci_u32_e64 v46, s0, 0, v41, s0
	v_lshlrev_b64 v[54:55], 2, v[60:61]
	s_delay_alu instid0(VALU_DEP_4)
	v_and_b32_e32 v33, s6, v33
	v_add_nc_u32_e32 v21, 0x1200, v1
	v_lshrrev_b32_e32 v56, s64, v51
	global_store_b32 v[45:46], v47, off
	v_xor_b32_e32 v64, 0x7fffffff, v43
	v_lshlrev_b32_e32 v45, 3, v33
	v_lshlrev_b32_e32 v25, 2, v21
	v_add_co_u32 v41, s0, s54, v54
	s_delay_alu instid0(VALU_DEP_1)
	v_add_co_ci_u32_e64 v43, s0, s55, v55, s0
	v_and_b32_e32 v33, s6, v56
	v_lshlrev_b64 v[54:55], 2, v[62:63]
	ds_load_b64 v[56:57], v45
	v_add_co_u32 v46, s0, v41, v25
	s_waitcnt lgkmcnt(1)
	v_lshrrev_b32_e32 v41, s64, v52
	v_add_co_ci_u32_e64 v47, s0, 0, v43, s0
	v_lshrrev_b32_e32 v43, s64, v53
	v_xor_b32_e32 v65, 0x7fffffff, v44
	v_lshlrev_b32_e32 v44, 3, v33
	v_or_b32_e32 v25, 0x1400, v1
	v_add_co_u32 v58, s0, s54, v54
	v_and_b32_e32 v33, s6, v41
	v_and_b32_e32 v43, s6, v43
	v_add_co_ci_u32_e64 v59, s0, s55, v55, s0
	ds_load_b64 v[54:55], v44
	v_lshlrev_b32_e32 v60, 2, v25
	v_lshlrev_b32_e32 v41, 3, v33
	;; [unrolled: 1-line block ×3, first 2 shown]
	s_waitcnt lgkmcnt(1)
	v_lshlrev_b64 v[56:57], 2, v[56:57]
	v_add_nc_u32_e32 v43, 0x1600, v1
	v_add_co_u32 v58, s0, v58, v60
	s_delay_alu instid0(VALU_DEP_1)
	v_add_co_ci_u32_e64 v59, s0, 0, v59, s0
	ds_load_b64 v[60:61], v41
	ds_load_b64 v[62:63], v33
	s_clause 0x1
	global_store_b32 v[46:47], v64, off
	global_store_b32 v[58:59], v65, off
	ds_load_2addr_stride64_b32 v[58:59], v76 offset0:128 offset1:136
	v_xor_b32_e32 v64, 0x7fffffff, v50
	v_lshlrev_b32_e32 v47, 2, v43
	v_add_co_u32 v50, s0, s54, v56
	s_delay_alu instid0(VALU_DEP_1) | instskip(SKIP_4) | instid1(VALU_DEP_1)
	v_add_co_ci_u32_e64 v57, s0, s55, v57, s0
	s_waitcnt lgkmcnt(3)
	v_lshlrev_b64 v[54:55], 2, v[54:55]
	v_or_b32_e32 v46, 0x1800, v1
	v_add_co_u32 v56, s0, v50, v47
	v_add_co_ci_u32_e64 v57, s0, 0, v57, s0
	s_delay_alu instid0(VALU_DEP_3)
	v_lshlrev_b32_e32 v66, 2, v46
	v_add_co_u32 v54, s0, s54, v54
	v_xor_b32_e32 v65, 0x7fffffff, v51
	v_add_co_ci_u32_e64 v55, s0, s55, v55, s0
	s_waitcnt lgkmcnt(2)
	v_lshlrev_b64 v[50:51], 2, v[60:61]
	v_add_nc_u32_e32 v47, 0x1a00, v1
	v_add_co_u32 v54, s0, v54, v66
	ds_load_2addr_stride64_b32 v[60:61], v76 offset0:144 offset1:152
	v_add_co_ci_u32_e64 v55, s0, 0, v55, s0
	v_lshlrev_b32_e32 v66, 2, v47
	v_add_co_u32 v50, s0, s54, v50
	s_waitcnt lgkmcnt(1)
	v_lshrrev_b32_e32 v67, s64, v58
	v_add_co_ci_u32_e64 v51, s0, s55, v51, s0
	s_delay_alu instid0(VALU_DEP_3) | instskip(NEXT) | instid1(VALU_DEP_3)
	v_add_co_u32 v50, s0, v50, v66
	v_and_b32_e32 v66, s6, v67
	v_xor_b32_e32 v52, 0x7fffffff, v52
	v_lshrrev_b32_e32 v68, s64, v59
	v_add_co_ci_u32_e64 v51, s0, 0, v51, s0
	s_clause 0x1
	global_store_b32 v[56:57], v64, off
	global_store_b32 v[54:55], v65, off
	v_lshlrev_b32_e32 v64, 3, v66
	v_and_b32_e32 v54, s6, v68
	global_store_b32 v[50:51], v52, off
	v_xor_b32_e32 v66, 0x7fffffff, v53
	v_lshlrev_b64 v[52:53], 2, v[62:63]
	ds_load_b64 v[50:51], v64
	v_or_b32_e32 v65, 0x1c00, v1
	s_waitcnt lgkmcnt(1)
	v_lshrrev_b32_e32 v56, s64, v60
	v_lshrrev_b32_e32 v57, s64, v61
	v_lshlrev_b32_e32 v67, 3, v54
	v_add_co_u32 v52, s0, s54, v52
	v_lshlrev_b32_e32 v62, 2, v65
	v_and_b32_e32 v56, s6, v56
	ds_load_b64 v[54:55], v67
	v_add_co_ci_u32_e64 v53, s0, s55, v53, s0
	v_and_b32_e32 v57, s6, v57
	v_add_co_u32 v52, s0, v52, v62
	v_lshlrev_b32_e32 v68, 3, v56
	s_delay_alu instid0(VALU_DEP_4) | instskip(NEXT) | instid1(VALU_DEP_4)
	v_add_co_ci_u32_e64 v53, s0, 0, v53, s0
	v_lshlrev_b32_e32 v69, 3, v57
	ds_load_b64 v[56:57], v68
	ds_load_b64 v[62:63], v69
	global_store_b32 v[52:53], v66, off
	ds_load_2addr_stride64_b32 v[52:53], v76 offset0:160 offset1:168
	s_waitcnt lgkmcnt(4)
	v_lshlrev_b64 v[50:51], 2, v[50:51]
	v_xor_b32_e32 v66, 0x7fffffff, v58
	v_lshlrev_b32_e32 v58, 2, v70
	ds_load_b32 v76, v76 offset:45056
	v_xor_b32_e32 v60, 0x7fffffff, v60
	v_xor_b32_e32 v61, 0x7fffffff, v61
	v_add_co_u32 v71, s0, s54, v50
	s_delay_alu instid0(VALU_DEP_1) | instskip(SKIP_2) | instid1(VALU_DEP_3)
	v_add_co_ci_u32_e64 v72, s0, s55, v51, s0
	s_waitcnt lgkmcnt(4)
	v_lshlrev_b64 v[50:51], 2, v[54:55]
	v_add_co_u32 v54, s0, v71, v58
	v_or_b32_e32 v71, 0x2000, v1
	v_add_co_ci_u32_e64 v55, s0, 0, v72, s0
	s_delay_alu instid0(VALU_DEP_4) | instskip(NEXT) | instid1(VALU_DEP_3)
	v_add_co_u32 v58, s0, s54, v50
	v_lshlrev_b32_e32 v73, 2, v71
	v_xor_b32_e32 v72, 0x7fffffff, v59
	v_add_co_ci_u32_e64 v59, s0, s55, v51, s0
	s_waitcnt lgkmcnt(1)
	v_lshrrev_b32_e32 v75, s64, v52
	v_lshlrev_b64 v[50:51], 2, v[56:57]
	v_add_co_u32 v56, s0, v58, v73
	s_delay_alu instid0(VALU_DEP_1) | instskip(NEXT) | instid1(VALU_DEP_4)
	v_add_co_ci_u32_e64 v57, s0, 0, v59, s0
	v_and_b32_e32 v59, s6, v75
	v_lshlrev_b32_e32 v58, 2, v74
	v_add_co_u32 v50, s0, s54, v50
	v_lshrrev_b32_e32 v75, s64, v53
	v_add_co_ci_u32_e64 v51, s0, s55, v51, s0
	v_lshlrev_b32_e32 v73, 3, v59
	s_delay_alu instid0(VALU_DEP_4) | instskip(NEXT) | instid1(VALU_DEP_4)
	v_add_co_u32 v50, s0, v50, v58
	v_and_b32_e32 v75, s6, v75
	s_delay_alu instid0(VALU_DEP_4)
	v_add_co_ci_u32_e64 v51, s0, 0, v51, s0
	ds_load_b64 v[58:59], v73
	s_waitcnt lgkmcnt(1)
	v_lshrrev_b32_e32 v77, s64, v76
	s_clause 0x2
	global_store_b32 v[54:55], v66, off
	global_store_b32 v[56:57], v72, off
	global_store_b32 v[50:51], v60, off
	v_lshlrev_b32_e32 v60, 3, v75
	v_lshlrev_b64 v[50:51], 2, v[62:63]
	v_or_b32_e32 v62, 0x2400, v1
	v_and_b32_e32 v56, s6, v77
	v_add_nc_u32_e32 v77, 0x2600, v1
	ds_load_b64 v[54:55], v60
	v_add_co_u32 v66, s0, s54, v50
	v_lshlrev_b32_e32 v63, 3, v56
	v_add_co_ci_u32_e64 v72, s0, s55, v51, s0
	v_lshlrev_b32_e32 v75, 2, v62
	ds_load_b64 v[50:51], v63
	s_waitcnt lgkmcnt(2)
	v_lshlrev_b64 v[56:57], 2, v[58:59]
	v_add_co_u32 v58, s0, v66, v75
	s_delay_alu instid0(VALU_DEP_1) | instskip(SKIP_3) | instid1(VALU_DEP_1)
	v_add_co_ci_u32_e64 v59, s0, 0, v72, s0
	v_xor_b32_e32 v66, 0x7fffffff, v52
	v_lshlrev_b32_e32 v52, 2, v77
	v_add_co_u32 v56, s0, s54, v56
	v_add_co_ci_u32_e64 v57, s0, s55, v57, s0
	s_waitcnt lgkmcnt(1)
	v_lshlrev_b64 v[54:55], 2, v[54:55]
	v_or_b32_e32 v72, 0x2800, v1
	v_add_co_u32 v56, s0, v56, v52
	s_delay_alu instid0(VALU_DEP_1) | instskip(SKIP_1) | instid1(VALU_DEP_4)
	v_add_co_ci_u32_e64 v57, s0, 0, v57, s0
	v_xor_b32_e32 v75, 0x7fffffff, v53
	v_lshlrev_b32_e32 v52, 2, v72
	v_add_co_u32 v53, s0, s54, v54
	s_delay_alu instid0(VALU_DEP_1) | instskip(SKIP_2) | instid1(VALU_DEP_3)
	v_add_co_ci_u32_e64 v54, s0, s55, v55, s0
	s_waitcnt lgkmcnt(0)
	v_lshlrev_b64 v[50:51], 2, v[50:51]
	v_add_co_u32 v52, s0, v53, v52
	s_delay_alu instid0(VALU_DEP_1) | instskip(SKIP_1) | instid1(VALU_DEP_4)
	v_add_co_ci_u32_e64 v53, s0, 0, v54, s0
	v_add_nc_u32_e32 v54, 0x2a00, v1
	v_add_co_u32 v50, s0, s54, v50
	v_xor_b32_e32 v55, 0x7fffffff, v76
	v_add_co_ci_u32_e64 v51, s0, s55, v51, s0
	s_delay_alu instid0(VALU_DEP_4) | instskip(SKIP_3) | instid1(VALU_DEP_1)
	v_lshlrev_b32_e32 v76, 2, v54
	s_add_u32 s0, s56, s50
	s_addc_u32 s1, s57, 0
	v_add_co_u32 v11, s0, s0, v11
	v_add_co_ci_u32_e64 v78, null, s1, 0, s0
	v_add_co_u32 v50, s0, v50, v76
	s_delay_alu instid0(VALU_DEP_1) | instskip(NEXT) | instid1(VALU_DEP_4)
	v_add_co_ci_u32_e64 v51, s0, 0, v51, s0
	v_add_co_u32 v11, s0, v11, v12
	s_delay_alu instid0(VALU_DEP_1)
	v_add_co_ci_u32_e64 v12, s0, 0, v78, s0
	s_clause 0x3
	global_store_b32 v[58:59], v61, off
	global_store_b32 v[56:57], v66, off
	;; [unrolled: 1-line block ×4, first 2 shown]
	s_clause 0x15
	global_load_u8 v50, v[11:12], off
	global_load_u8 v51, v[11:12], off offset:32
	global_load_u8 v52, v[11:12], off offset:64
	global_load_u8 v53, v[11:12], off offset:96
	global_load_u8 v55, v[11:12], off offset:128
	global_load_u8 v56, v[11:12], off offset:160
	global_load_u8 v57, v[11:12], off offset:192
	global_load_u8 v58, v[11:12], off offset:224
	global_load_u8 v59, v[11:12], off offset:256
	global_load_u8 v61, v[11:12], off offset:288
	global_load_u8 v66, v[11:12], off offset:320
	global_load_u8 v75, v[11:12], off offset:352
	global_load_u8 v76, v[11:12], off offset:384
	global_load_u8 v78, v[11:12], off offset:416
	global_load_u8 v79, v[11:12], off offset:448
	global_load_u8 v80, v[11:12], off offset:480
	global_load_u8 v81, v[11:12], off offset:512
	global_load_u8 v82, v[11:12], off offset:544
	global_load_u8 v83, v[11:12], off offset:576
	global_load_u8 v84, v[11:12], off offset:608
	global_load_u8 v85, v[11:12], off offset:640
	global_load_u8 v11, v[11:12], off offset:672
	s_waitcnt vmcnt(0)
	s_waitcnt_vscnt null, 0x0
	s_barrier
	buffer_gl0_inv
	s_add_i32 s5, s5, -1
	ds_store_b8 v14, v50 offset:2048
	ds_store_b8 v15, v51 offset:2048
	;; [unrolled: 1-line block ×22, first 2 shown]
	s_waitcnt lgkmcnt(0)
	s_barrier
	buffer_gl0_inv
	ds_load_b64 v[11:12], v49
	ds_load_u8 v16, v1 offset:2048
	ds_load_b64 v[14:15], v37
	ds_load_b64 v[18:19], v48
	;; [unrolled: 1-line block ×3, first 2 shown]
	ds_load_u8 v20, v1 offset:2560
	ds_load_b64 v[26:27], v60
	ds_load_b64 v[28:29], v63
	s_cmp_eq_u32 s15, s5
	s_waitcnt lgkmcnt(7)
	v_add_co_u32 v11, s0, s58, v11
	s_delay_alu instid0(VALU_DEP_1) | instskip(NEXT) | instid1(VALU_DEP_2)
	v_add_co_ci_u32_e64 v12, s0, s59, v12, s0
	v_add_co_u32 v11, s0, v11, v1
	s_delay_alu instid0(VALU_DEP_1)
	v_add_co_ci_u32_e64 v12, s0, v12, v2, s0
	s_waitcnt lgkmcnt(6)
	global_store_b8 v[11:12], v16, off
	s_waitcnt lgkmcnt(5)
	v_add_co_u32 v11, s0, s58, v14
	ds_load_u8 v16, v1 offset:3072
	v_add_co_ci_u32_e64 v12, s0, s59, v15, s0
	v_add_co_u32 v11, s0, v11, v1
	s_delay_alu instid0(VALU_DEP_1) | instskip(SKIP_2) | instid1(VALU_DEP_1)
	v_add_co_ci_u32_e64 v12, s0, v12, v2, s0
	s_waitcnt lgkmcnt(5)
	v_add_co_u32 v14, s0, s58, v18
	v_add_co_ci_u32_e64 v15, s0, s59, v19, s0
	s_waitcnt lgkmcnt(3)
	global_store_b8 v[11:12], v20, off offset:512
	v_add_co_u32 v11, s0, v14, v1
	s_delay_alu instid0(VALU_DEP_1)
	v_add_co_ci_u32_e64 v12, s0, v15, v2, s0
	ds_load_b64 v[14:15], v6
	ds_load_u8 v20, v1 offset:3584
	ds_load_u8 v24, v1 offset:4096
	;; [unrolled: 1-line block ×7, first 2 shown]
	ds_load_b64 v[5:6], v5
	s_waitcnt lgkmcnt(9)
	global_store_b8 v[11:12], v16, off offset:1024
	ds_load_b64 v[11:12], v0
	v_add_co_u32 v0, s0, s58, v22
	s_delay_alu instid0(VALU_DEP_1) | instskip(SKIP_2) | instid1(VALU_DEP_1)
	v_add_co_ci_u32_e64 v16, s0, s59, v23, s0
	ds_load_b64 v[22:23], v7
	v_add_co_u32 v18, s0, v0, v1
	v_add_co_ci_u32_e64 v19, s0, v16, v2, s0
	s_waitcnt lgkmcnt(10)
	v_add_co_u32 v0, s0, s58, v14
	s_delay_alu instid0(VALU_DEP_1) | instskip(SKIP_3) | instid1(VALU_DEP_1)
	v_add_co_ci_u32_e64 v7, s0, s59, v15, s0
	s_waitcnt lgkmcnt(9)
	global_store_b8 v[18:19], v20, off offset:1536
	v_add_co_u32 v14, s0, v0, v1
	v_add_co_ci_u32_e64 v15, s0, v7, v2, s0
	s_waitcnt lgkmcnt(1)
	v_add_co_u32 v0, s0, s58, v11
	s_delay_alu instid0(VALU_DEP_1) | instskip(SKIP_2) | instid1(VALU_DEP_1)
	v_add_co_ci_u32_e64 v7, s0, s59, v12, s0
	ds_load_b64 v[10:11], v10
	v_add_co_u32 v12, s0, s58, v5
	v_add_co_ci_u32_e64 v16, s0, s59, v6, s0
	v_add_co_u32 v5, s0, v0, v1
	s_delay_alu instid0(VALU_DEP_1) | instskip(NEXT) | instid1(VALU_DEP_4)
	v_add_co_ci_u32_e64 v6, s0, v7, v2, s0
	v_add_co_u32 v18, s0, v12, v1
	s_delay_alu instid0(VALU_DEP_1) | instskip(SKIP_2) | instid1(VALU_DEP_1)
	v_add_co_ci_u32_e64 v19, s0, v16, v2, s0
	s_waitcnt lgkmcnt(1)
	v_add_co_u32 v0, s0, s58, v22
	v_add_co_ci_u32_e64 v12, s0, s59, v23, s0
	ds_load_b64 v[7:8], v8
	ds_load_b64 v[22:23], v9
	;; [unrolled: 1-line block ×3, first 2 shown]
	s_waitcnt lgkmcnt(3)
	v_add_co_u32 v16, s0, s58, v10
	s_delay_alu instid0(VALU_DEP_1) | instskip(SKIP_1) | instid1(VALU_DEP_1)
	v_add_co_ci_u32_e64 v20, s0, s59, v11, s0
	v_add_co_u32 v9, s0, v0, v1
	v_add_co_ci_u32_e64 v10, s0, v12, v2, s0
	s_delay_alu instid0(VALU_DEP_4) | instskip(NEXT) | instid1(VALU_DEP_1)
	v_add_co_u32 v11, s0, v16, v17
	v_add_co_ci_u32_e64 v12, s0, 0, v20, s0
	s_clause 0x4
	global_store_b8 v[14:15], v24, off offset:2048
	global_store_b8 v[5:6], v32, off offset:2560
	;; [unrolled: 1-line block ×4, first 2 shown]
	global_store_b8 v[11:12], v36, off
	ds_load_u8 v9, v1 offset:7168
	s_waitcnt lgkmcnt(3)
	v_add_co_u32 v0, s0, s58, v7
	s_delay_alu instid0(VALU_DEP_1) | instskip(NEXT) | instid1(VALU_DEP_2)
	v_add_co_ci_u32_e64 v6, s0, s59, v8, s0
	v_add_co_u32 v5, s0, v0, v21
	s_delay_alu instid0(VALU_DEP_1) | instskip(SKIP_2) | instid1(VALU_DEP_1)
	v_add_co_ci_u32_e64 v6, s0, 0, v6, s0
	s_waitcnt lgkmcnt(2)
	v_add_co_u32 v0, s0, s58, v22
	v_add_co_ci_u32_e64 v7, s0, s59, v23, s0
	global_store_b8 v[5:6], v37, off
	v_add_co_u32 v5, s0, v0, v25
	s_delay_alu instid0(VALU_DEP_1)
	v_add_co_ci_u32_e64 v6, s0, 0, v7, s0
	ds_load_b64 v[7:8], v44
	ds_load_u8 v0, v1 offset:7680
	ds_load_u8 v22, v1 offset:8192
	;; [unrolled: 1-line block ×7, first 2 shown]
	s_waitcnt lgkmcnt(9)
	v_add_co_u32 v11, s0, s58, v30
	s_waitcnt lgkmcnt(8)
	global_store_b8 v[5:6], v9, off
	ds_load_b64 v[5:6], v41
	ds_load_b64 v[14:15], v64
	v_add_co_ci_u32_e64 v12, s0, s59, v31, s0
	ds_load_b64 v[9:10], v33
	v_add_co_u32 v11, s0, v11, v43
	s_delay_alu instid0(VALU_DEP_1) | instskip(SKIP_2) | instid1(VALU_DEP_1)
	v_add_co_ci_u32_e64 v12, s0, 0, v12, s0
	s_waitcnt lgkmcnt(10)
	v_add_co_u32 v7, s0, s58, v7
	v_add_co_ci_u32_e64 v8, s0, s59, v8, s0
	s_waitcnt lgkmcnt(9)
	global_store_b8 v[11:12], v0, off
	v_add_co_u32 v7, s0, v7, v46
	s_delay_alu instid0(VALU_DEP_1) | instskip(SKIP_2) | instid1(VALU_DEP_1)
	v_add_co_ci_u32_e64 v8, s0, 0, v8, s0
	s_waitcnt lgkmcnt(2)
	v_add_co_u32 v0, s0, s58, v5
	v_add_co_ci_u32_e64 v11, s0, s59, v6, s0
	ds_load_b64 v[5:6], v67
	s_waitcnt lgkmcnt(1)
	v_add_co_u32 v12, s0, s58, v9
	s_delay_alu instid0(VALU_DEP_1) | instskip(SKIP_1) | instid1(VALU_DEP_1)
	v_add_co_ci_u32_e64 v16, s0, s59, v10, s0
	v_add_co_u32 v9, s0, v0, v47
	v_add_co_ci_u32_e64 v10, s0, 0, v11, s0
	s_delay_alu instid0(VALU_DEP_4) | instskip(NEXT) | instid1(VALU_DEP_1)
	v_add_co_u32 v11, s0, v12, v65
	v_add_co_ci_u32_e64 v12, s0, 0, v16, s0
	v_add_co_u32 v0, s0, s58, v14
	s_delay_alu instid0(VALU_DEP_1)
	v_add_co_ci_u32_e64 v20, s0, s59, v15, s0
	ds_load_b64 v[14:15], v68
	ds_load_b64 v[16:17], v69
	;; [unrolled: 1-line block ×3, first 2 shown]
	s_waitcnt lgkmcnt(3)
	v_add_co_u32 v21, s0, s58, v5
	s_delay_alu instid0(VALU_DEP_1) | instskip(SKIP_1) | instid1(VALU_DEP_1)
	v_add_co_ci_u32_e64 v30, s0, s59, v6, s0
	v_add_co_u32 v5, s0, v0, v70
	v_add_co_ci_u32_e64 v6, s0, 0, v20, s0
	s_delay_alu instid0(VALU_DEP_4) | instskip(NEXT) | instid1(VALU_DEP_1)
	v_add_co_u32 v20, s0, v21, v71
	v_add_co_ci_u32_e64 v21, s0, 0, v30, s0
	s_clause 0x4
	global_store_b8 v[7:8], v22, off
	global_store_b8 v[9:10], v23, off
	global_store_b8 v[11:12], v24, off
	global_store_b8 v[5:6], v25, off
	global_store_b8 v[20:21], v32, off
	ds_load_u8 v0, v1 offset:11264
	s_waitcnt lgkmcnt(3)
	v_add_co_u32 v5, s0, s58, v14
	s_delay_alu instid0(VALU_DEP_1) | instskip(SKIP_2) | instid1(VALU_DEP_1)
	v_add_co_ci_u32_e64 v6, s0, s59, v15, s0
	s_waitcnt lgkmcnt(2)
	v_add_co_u32 v7, s0, s58, v16
	v_add_co_ci_u32_e64 v8, s0, s59, v17, s0
	v_add_co_u32 v5, s0, v5, v74
	s_delay_alu instid0(VALU_DEP_1) | instskip(NEXT) | instid1(VALU_DEP_4)
	v_add_co_ci_u32_e64 v6, s0, 0, v6, s0
	v_add_co_u32 v7, s0, v7, v62
	s_delay_alu instid0(VALU_DEP_1)
	v_add_co_ci_u32_e64 v8, s0, 0, v8, s0
	global_store_b8 v[5:6], v34, off
	ds_load_u8 v11, v1 offset:11776
	ds_load_u8 v12, v1 offset:12288
	ds_load_u8 v14, v1 offset:12800
	s_waitcnt lgkmcnt(3)
	global_store_b8 v[7:8], v0, off
	v_add_co_u32 v0, s0, s58, v18
	s_delay_alu instid0(VALU_DEP_1) | instskip(SKIP_1) | instid1(VALU_DEP_1)
	v_add_co_ci_u32_e64 v6, s0, s59, v19, s0
	v_add_co_u32 v7, s0, s58, v26
	v_add_co_ci_u32_e64 v8, s0, s59, v27, s0
	s_delay_alu instid0(VALU_DEP_4) | instskip(NEXT) | instid1(VALU_DEP_1)
	v_add_co_u32 v5, s0, v0, v77
	v_add_co_ci_u32_e64 v6, s0, 0, v6, s0
	s_delay_alu instid0(VALU_DEP_4) | instskip(NEXT) | instid1(VALU_DEP_1)
	v_add_co_u32 v7, s0, v7, v72
	v_add_co_ci_u32_e64 v8, s0, 0, v8, s0
	v_add_co_u32 v0, s0, s58, v28
	s_delay_alu instid0(VALU_DEP_1) | instskip(SKIP_3) | instid1(VALU_DEP_1)
	v_add_co_ci_u32_e64 v10, s0, s59, v29, s0
	s_waitcnt lgkmcnt(2)
	global_store_b8 v[5:6], v11, off
	v_add_co_u32 v9, s0, v0, v54
	v_add_co_ci_u32_e64 v10, s0, 0, v10, s0
	s_cselect_b32 s0, -1, 0
	s_waitcnt lgkmcnt(1)
	global_store_b8 v[7:8], v12, off
	s_and_b32 s1, vcc_lo, s0
	s_waitcnt lgkmcnt(0)
	global_store_b8 v[9:10], v14, off
                                        ; implicit-def: $vgpr5_vgpr6
	s_and_saveexec_b32 s0, s1
; %bb.292:
	v_add_co_u32 v5, vcc_lo, v3, v13
	v_add_co_ci_u32_e32 v6, vcc_lo, 0, v4, vcc_lo
	s_or_b32 s4, s4, exec_lo
; %bb.293:
	s_or_b32 exec_lo, exec_lo, s0
.LBB14_294:
	s_and_saveexec_b32 s0, s4
	s_cbranch_execnz .LBB14_296
; %bb.295:
	s_nop 0
	s_sendmsg sendmsg(MSG_DEALLOC_VGPRS)
	s_endpgm
.LBB14_296:
	v_lshlrev_b32_e32 v0, 3, v1
	ds_load_b64 v[3:4], v0
	v_lshlrev_b64 v[0:1], 3, v[1:2]
	s_delay_alu instid0(VALU_DEP_1) | instskip(NEXT) | instid1(VALU_DEP_2)
	v_add_co_u32 v0, vcc_lo, s62, v0
	v_add_co_ci_u32_e32 v1, vcc_lo, s63, v1, vcc_lo
	s_waitcnt lgkmcnt(0)
	v_add_co_u32 v2, vcc_lo, v3, v5
	v_add_co_ci_u32_e32 v3, vcc_lo, v4, v6, vcc_lo
	global_store_b64 v[0:1], v[2:3], off
	s_nop 0
	s_sendmsg sendmsg(MSG_DEALLOC_VGPRS)
	s_endpgm
.LBB14_297:
	global_load_u8 v10, v[2:3], off
	s_or_b32 exec_lo, exec_lo, s48
                                        ; implicit-def: $vgpr45
	s_and_saveexec_b32 s48, s2
	s_cbranch_execz .LBB14_155
.LBB14_298:
	global_load_u8 v45, v[2:3], off offset:32
	s_or_b32 exec_lo, exec_lo, s48
                                        ; implicit-def: $vgpr46
	s_and_saveexec_b32 s2, s3
	s_cbranch_execz .LBB14_156
.LBB14_299:
	global_load_u8 v46, v[2:3], off offset:64
	s_or_b32 exec_lo, exec_lo, s2
                                        ; implicit-def: $vgpr47
	s_and_saveexec_b32 s2, s4
	s_cbranch_execz .LBB14_157
.LBB14_300:
	global_load_u8 v47, v[2:3], off offset:96
	s_or_b32 exec_lo, exec_lo, s2
                                        ; implicit-def: $vgpr48
	s_and_saveexec_b32 s2, s5
	s_cbranch_execz .LBB14_158
.LBB14_301:
	global_load_u8 v48, v[2:3], off offset:128
	s_or_b32 exec_lo, exec_lo, s2
                                        ; implicit-def: $vgpr49
	s_and_saveexec_b32 s2, s6
	s_cbranch_execz .LBB14_159
.LBB14_302:
	global_load_u8 v49, v[2:3], off offset:160
	s_or_b32 exec_lo, exec_lo, s2
                                        ; implicit-def: $vgpr50
	s_and_saveexec_b32 s2, s7
	s_cbranch_execz .LBB14_160
.LBB14_303:
	global_load_u8 v50, v[2:3], off offset:192
	s_or_b32 exec_lo, exec_lo, s2
                                        ; implicit-def: $vgpr51
	s_and_saveexec_b32 s2, s8
	s_cbranch_execz .LBB14_161
.LBB14_304:
	global_load_u8 v51, v[2:3], off offset:224
	s_or_b32 exec_lo, exec_lo, s2
                                        ; implicit-def: $vgpr52
	s_and_saveexec_b32 s2, s9
	s_cbranch_execz .LBB14_162
.LBB14_305:
	global_load_u8 v52, v[2:3], off offset:256
	s_or_b32 exec_lo, exec_lo, s2
                                        ; implicit-def: $vgpr53
	s_and_saveexec_b32 s2, s10
	s_cbranch_execz .LBB14_163
.LBB14_306:
	global_load_u8 v53, v[2:3], off offset:288
	s_or_b32 exec_lo, exec_lo, s2
                                        ; implicit-def: $vgpr54
	s_and_saveexec_b32 s2, s11
	s_cbranch_execz .LBB14_164
.LBB14_307:
	global_load_u8 v54, v[2:3], off offset:320
	s_or_b32 exec_lo, exec_lo, s2
                                        ; implicit-def: $vgpr55
	s_and_saveexec_b32 s2, s12
	s_cbranch_execz .LBB14_165
.LBB14_308:
	global_load_u8 v55, v[2:3], off offset:352
	s_or_b32 exec_lo, exec_lo, s2
                                        ; implicit-def: $vgpr56
	s_and_saveexec_b32 s2, s13
	s_cbranch_execz .LBB14_166
.LBB14_309:
	global_load_u8 v56, v[2:3], off offset:384
	s_or_b32 exec_lo, exec_lo, s2
                                        ; implicit-def: $vgpr58
	s_and_saveexec_b32 s2, s14
	s_cbranch_execz .LBB14_167
.LBB14_310:
	global_load_u8 v58, v[2:3], off offset:416
	s_or_b32 exec_lo, exec_lo, s2
                                        ; implicit-def: $vgpr61
	s_and_saveexec_b32 s2, s16
	s_cbranch_execz .LBB14_168
.LBB14_311:
	global_load_u8 v61, v[2:3], off offset:448
	s_or_b32 exec_lo, exec_lo, s2
                                        ; implicit-def: $vgpr65
	s_and_saveexec_b32 s2, s17
	s_cbranch_execz .LBB14_169
.LBB14_312:
	global_load_u8 v65, v[2:3], off offset:480
	s_or_b32 exec_lo, exec_lo, s2
                                        ; implicit-def: $vgpr68
	s_and_saveexec_b32 s2, s18
	s_cbranch_execz .LBB14_170
.LBB14_313:
	global_load_u8 v68, v[2:3], off offset:512
	s_or_b32 exec_lo, exec_lo, s2
                                        ; implicit-def: $vgpr71
	s_and_saveexec_b32 s2, s19
	s_cbranch_execz .LBB14_171
.LBB14_314:
	global_load_u8 v71, v[2:3], off offset:544
	s_or_b32 exec_lo, exec_lo, s2
                                        ; implicit-def: $vgpr74
	s_and_saveexec_b32 s2, s20
	s_cbranch_execz .LBB14_172
.LBB14_315:
	global_load_u8 v74, v[2:3], off offset:576
	s_or_b32 exec_lo, exec_lo, s2
                                        ; implicit-def: $vgpr77
	s_and_saveexec_b32 s2, s21
	s_cbranch_execz .LBB14_173
.LBB14_316:
	global_load_u8 v77, v[2:3], off offset:608
	s_or_b32 exec_lo, exec_lo, s2
                                        ; implicit-def: $vgpr81
	s_and_saveexec_b32 s2, s22
	s_cbranch_execz .LBB14_174
.LBB14_317:
	global_load_u8 v81, v[2:3], off offset:640
	s_or_b32 exec_lo, exec_lo, s2
                                        ; implicit-def: $vgpr84
	s_and_saveexec_b32 s2, s23
	s_cbranch_execz .LBB14_175
.LBB14_318:
	global_load_u8 v84, v[2:3], off offset:672
	s_or_b32 exec_lo, exec_lo, s2
                                        ; implicit-def: $vgpr85
	s_and_saveexec_b32 s2, s25
	s_cbranch_execz .LBB14_176
.LBB14_319:
	ds_load_b32 v2, v12 offset:2048
	s_waitcnt lgkmcnt(0)
	v_lshrrev_b32_e32 v2, s64, v2
	s_delay_alu instid0(VALU_DEP_1)
	v_and_b32_e32 v85, s51, v2
	s_or_b32 exec_lo, exec_lo, s2
                                        ; implicit-def: $vgpr83
	s_and_saveexec_b32 s2, s26
	s_cbranch_execz .LBB14_177
.LBB14_320:
	ds_load_b32 v2, v12 offset:4096
	s_waitcnt lgkmcnt(0)
	v_lshrrev_b32_e32 v2, s64, v2
	s_delay_alu instid0(VALU_DEP_1)
	v_and_b32_e32 v83, s51, v2
	s_or_b32 exec_lo, exec_lo, s2
                                        ; implicit-def: $vgpr82
	s_and_saveexec_b32 s2, s27
	s_cbranch_execz .LBB14_178
.LBB14_321:
	ds_load_b32 v2, v12 offset:6144
	s_waitcnt lgkmcnt(0)
	v_lshrrev_b32_e32 v2, s64, v2
	s_delay_alu instid0(VALU_DEP_1)
	v_and_b32_e32 v82, s51, v2
	s_or_b32 exec_lo, exec_lo, s2
                                        ; implicit-def: $vgpr80
	s_and_saveexec_b32 s2, s28
	s_cbranch_execz .LBB14_179
.LBB14_322:
	ds_load_b32 v2, v12 offset:8192
	s_waitcnt lgkmcnt(0)
	v_lshrrev_b32_e32 v2, s64, v2
	s_delay_alu instid0(VALU_DEP_1)
	v_and_b32_e32 v80, s51, v2
	s_or_b32 exec_lo, exec_lo, s2
                                        ; implicit-def: $vgpr79
	s_and_saveexec_b32 s2, s29
	s_cbranch_execz .LBB14_180
.LBB14_323:
	ds_load_b32 v2, v12 offset:10240
	s_waitcnt lgkmcnt(0)
	v_lshrrev_b32_e32 v2, s64, v2
	s_delay_alu instid0(VALU_DEP_1)
	v_and_b32_e32 v79, s51, v2
	s_or_b32 exec_lo, exec_lo, s2
                                        ; implicit-def: $vgpr78
	s_and_saveexec_b32 s2, s30
	s_cbranch_execz .LBB14_181
.LBB14_324:
	ds_load_b32 v2, v12 offset:12288
	s_waitcnt lgkmcnt(0)
	v_lshrrev_b32_e32 v2, s64, v2
	s_delay_alu instid0(VALU_DEP_1)
	v_and_b32_e32 v78, s51, v2
	s_or_b32 exec_lo, exec_lo, s2
                                        ; implicit-def: $vgpr76
	s_and_saveexec_b32 s2, s31
	s_cbranch_execz .LBB14_182
.LBB14_325:
	ds_load_b32 v2, v12 offset:14336
	s_waitcnt lgkmcnt(0)
	v_lshrrev_b32_e32 v2, s64, v2
	s_delay_alu instid0(VALU_DEP_1)
	v_and_b32_e32 v76, s51, v2
	s_or_b32 exec_lo, exec_lo, s2
                                        ; implicit-def: $vgpr75
	s_and_saveexec_b32 s2, s33
	s_cbranch_execz .LBB14_183
.LBB14_326:
	ds_load_b32 v2, v12 offset:16384
	s_waitcnt lgkmcnt(0)
	v_lshrrev_b32_e32 v2, s64, v2
	s_delay_alu instid0(VALU_DEP_1)
	v_and_b32_e32 v75, s51, v2
	s_or_b32 exec_lo, exec_lo, s2
                                        ; implicit-def: $vgpr73
	s_and_saveexec_b32 s2, s34
	s_cbranch_execz .LBB14_184
.LBB14_327:
	ds_load_b32 v2, v12 offset:18432
	s_waitcnt lgkmcnt(0)
	v_lshrrev_b32_e32 v2, s64, v2
	s_delay_alu instid0(VALU_DEP_1)
	v_and_b32_e32 v73, s51, v2
	s_or_b32 exec_lo, exec_lo, s2
                                        ; implicit-def: $vgpr72
	s_and_saveexec_b32 s2, s35
	s_cbranch_execz .LBB14_185
.LBB14_328:
	ds_load_b32 v2, v12 offset:20480
	s_waitcnt lgkmcnt(0)
	v_lshrrev_b32_e32 v2, s64, v2
	s_delay_alu instid0(VALU_DEP_1)
	v_and_b32_e32 v72, s51, v2
	s_or_b32 exec_lo, exec_lo, s2
                                        ; implicit-def: $vgpr70
	s_and_saveexec_b32 s2, s36
	s_cbranch_execz .LBB14_186
.LBB14_329:
	ds_load_b32 v2, v12 offset:22528
	s_waitcnt lgkmcnt(0)
	v_lshrrev_b32_e32 v2, s64, v2
	s_delay_alu instid0(VALU_DEP_1)
	v_and_b32_e32 v70, s51, v2
	s_or_b32 exec_lo, exec_lo, s2
                                        ; implicit-def: $vgpr69
	s_and_saveexec_b32 s2, s37
	s_cbranch_execz .LBB14_187
.LBB14_330:
	ds_load_b32 v2, v12 offset:24576
	s_waitcnt lgkmcnt(0)
	v_lshrrev_b32_e32 v2, s64, v2
	s_delay_alu instid0(VALU_DEP_1)
	v_and_b32_e32 v69, s51, v2
	s_or_b32 exec_lo, exec_lo, s2
                                        ; implicit-def: $vgpr67
	s_and_saveexec_b32 s2, s38
	s_cbranch_execz .LBB14_188
.LBB14_331:
	ds_load_b32 v2, v12 offset:26624
	s_waitcnt lgkmcnt(0)
	v_lshrrev_b32_e32 v2, s64, v2
	s_delay_alu instid0(VALU_DEP_1)
	v_and_b32_e32 v67, s51, v2
	s_or_b32 exec_lo, exec_lo, s2
                                        ; implicit-def: $vgpr66
	s_and_saveexec_b32 s2, s39
	s_cbranch_execz .LBB14_189
.LBB14_332:
	ds_load_b32 v2, v12 offset:28672
	s_waitcnt lgkmcnt(0)
	v_lshrrev_b32_e32 v2, s64, v2
	s_delay_alu instid0(VALU_DEP_1)
	v_and_b32_e32 v66, s51, v2
	s_or_b32 exec_lo, exec_lo, s2
                                        ; implicit-def: $vgpr64
	s_and_saveexec_b32 s2, s40
	s_cbranch_execz .LBB14_190
.LBB14_333:
	ds_load_b32 v2, v12 offset:30720
	s_waitcnt lgkmcnt(0)
	v_lshrrev_b32_e32 v2, s64, v2
	s_delay_alu instid0(VALU_DEP_1)
	v_and_b32_e32 v64, s51, v2
	s_or_b32 exec_lo, exec_lo, s2
                                        ; implicit-def: $vgpr63
	s_and_saveexec_b32 s2, s41
	s_cbranch_execz .LBB14_191
.LBB14_334:
	ds_load_b32 v2, v12 offset:32768
	s_waitcnt lgkmcnt(0)
	v_lshrrev_b32_e32 v2, s64, v2
	s_delay_alu instid0(VALU_DEP_1)
	v_and_b32_e32 v63, s51, v2
	s_or_b32 exec_lo, exec_lo, s2
                                        ; implicit-def: $vgpr62
	s_and_saveexec_b32 s2, s42
	s_cbranch_execz .LBB14_192
.LBB14_335:
	ds_load_b32 v2, v12 offset:34816
	s_waitcnt lgkmcnt(0)
	v_lshrrev_b32_e32 v2, s64, v2
	s_delay_alu instid0(VALU_DEP_1)
	v_and_b32_e32 v62, s51, v2
	s_or_b32 exec_lo, exec_lo, s2
                                        ; implicit-def: $vgpr60
	s_and_saveexec_b32 s2, s43
	s_cbranch_execz .LBB14_193
.LBB14_336:
	ds_load_b32 v2, v12 offset:36864
	s_waitcnt lgkmcnt(0)
	v_lshrrev_b32_e32 v2, s64, v2
	s_delay_alu instid0(VALU_DEP_1)
	v_and_b32_e32 v60, s51, v2
	s_or_b32 exec_lo, exec_lo, s2
                                        ; implicit-def: $vgpr59
	s_and_saveexec_b32 s2, s44
	s_cbranch_execz .LBB14_194
.LBB14_337:
	ds_load_b32 v2, v12 offset:38912
	s_waitcnt lgkmcnt(0)
	v_lshrrev_b32_e32 v2, s64, v2
	s_delay_alu instid0(VALU_DEP_1)
	v_and_b32_e32 v59, s51, v2
	s_or_b32 exec_lo, exec_lo, s2
                                        ; implicit-def: $vgpr57
	s_and_saveexec_b32 s2, s45
	s_cbranch_execz .LBB14_195
.LBB14_338:
	ds_load_b32 v2, v12 offset:40960
	s_waitcnt lgkmcnt(0)
	v_lshrrev_b32_e32 v2, s64, v2
	s_delay_alu instid0(VALU_DEP_1)
	v_and_b32_e32 v57, s51, v2
	s_or_b32 exec_lo, exec_lo, s2
                                        ; implicit-def: $vgpr3
	s_and_saveexec_b32 s2, s46
	s_cbranch_execz .LBB14_196
.LBB14_339:
	ds_load_b32 v2, v12 offset:43008
	s_waitcnt lgkmcnt(0)
	v_lshrrev_b32_e32 v2, s64, v2
	s_delay_alu instid0(VALU_DEP_1)
	v_and_b32_e32 v3, s51, v2
	s_or_b32 exec_lo, exec_lo, s2
                                        ; implicit-def: $vgpr2
	s_and_saveexec_b32 s2, s47
	s_cbranch_execnz .LBB14_197
	s_branch .LBB14_198
.LBB14_340:
	v_lshlrev_b32_e32 v10, 3, v85
	ds_load_b64 v[15:16], v10
	ds_load_u8 v10, v1 offset:2048
	s_waitcnt lgkmcnt(1)
	v_add_co_u32 v12, vcc_lo, s58, v15
	v_add_co_ci_u32_e32 v16, vcc_lo, s59, v16, vcc_lo
	s_delay_alu instid0(VALU_DEP_2) | instskip(NEXT) | instid1(VALU_DEP_2)
	v_add_co_u32 v15, vcc_lo, v12, v1
	v_add_co_ci_u32_e32 v16, vcc_lo, 0, v16, vcc_lo
	s_waitcnt lgkmcnt(0)
	global_store_b8 v[15:16], v10, off
	s_or_b32 exec_lo, exec_lo, s2
	s_and_saveexec_b32 s2, s26
	s_cbranch_execz .LBB14_200
.LBB14_341:
	v_lshlrev_b32_e32 v10, 3, v83
	ds_load_b64 v[15:16], v10
	ds_load_u8 v10, v1 offset:2560
	s_waitcnt lgkmcnt(1)
	v_add_co_u32 v12, vcc_lo, s58, v15
	v_add_co_ci_u32_e32 v16, vcc_lo, s59, v16, vcc_lo
	s_delay_alu instid0(VALU_DEP_2) | instskip(NEXT) | instid1(VALU_DEP_2)
	v_add_co_u32 v15, vcc_lo, v12, v1
	v_add_co_ci_u32_e32 v16, vcc_lo, 0, v16, vcc_lo
	s_waitcnt lgkmcnt(0)
	global_store_b8 v[15:16], v10, off offset:512
	s_or_b32 exec_lo, exec_lo, s2
	s_and_saveexec_b32 s2, s27
	s_cbranch_execz .LBB14_201
.LBB14_342:
	v_lshlrev_b32_e32 v10, 3, v82
	ds_load_b64 v[15:16], v10
	ds_load_u8 v10, v1 offset:3072
	s_waitcnt lgkmcnt(1)
	v_add_co_u32 v12, vcc_lo, s58, v15
	v_add_co_ci_u32_e32 v16, vcc_lo, s59, v16, vcc_lo
	s_delay_alu instid0(VALU_DEP_2) | instskip(NEXT) | instid1(VALU_DEP_2)
	v_add_co_u32 v15, vcc_lo, v12, v1
	v_add_co_ci_u32_e32 v16, vcc_lo, 0, v16, vcc_lo
	s_waitcnt lgkmcnt(0)
	global_store_b8 v[15:16], v10, off offset:1024
	s_or_b32 exec_lo, exec_lo, s2
	s_and_saveexec_b32 s2, s28
	s_cbranch_execz .LBB14_202
.LBB14_343:
	v_lshlrev_b32_e32 v10, 3, v80
	ds_load_b64 v[15:16], v10
	ds_load_u8 v10, v1 offset:3584
	s_waitcnt lgkmcnt(1)
	v_add_co_u32 v12, vcc_lo, s58, v15
	v_add_co_ci_u32_e32 v16, vcc_lo, s59, v16, vcc_lo
	s_delay_alu instid0(VALU_DEP_2) | instskip(NEXT) | instid1(VALU_DEP_2)
	v_add_co_u32 v15, vcc_lo, v12, v1
	v_add_co_ci_u32_e32 v16, vcc_lo, 0, v16, vcc_lo
	s_waitcnt lgkmcnt(0)
	global_store_b8 v[15:16], v10, off offset:1536
	s_or_b32 exec_lo, exec_lo, s2
	s_and_saveexec_b32 s2, s29
	s_cbranch_execz .LBB14_203
.LBB14_344:
	v_lshlrev_b32_e32 v10, 3, v79
	ds_load_b64 v[15:16], v10
	ds_load_u8 v10, v1 offset:4096
	s_waitcnt lgkmcnt(1)
	v_add_co_u32 v12, vcc_lo, s58, v15
	v_add_co_ci_u32_e32 v16, vcc_lo, s59, v16, vcc_lo
	s_delay_alu instid0(VALU_DEP_2) | instskip(NEXT) | instid1(VALU_DEP_2)
	v_add_co_u32 v15, vcc_lo, v12, v1
	v_add_co_ci_u32_e32 v16, vcc_lo, 0, v16, vcc_lo
	s_waitcnt lgkmcnt(0)
	global_store_b8 v[15:16], v10, off offset:2048
	s_or_b32 exec_lo, exec_lo, s2
	s_and_saveexec_b32 s2, s30
	s_cbranch_execz .LBB14_204
.LBB14_345:
	v_lshlrev_b32_e32 v10, 3, v78
	ds_load_b64 v[15:16], v10
	ds_load_u8 v10, v1 offset:4608
	s_waitcnt lgkmcnt(1)
	v_add_co_u32 v12, vcc_lo, s58, v15
	v_add_co_ci_u32_e32 v16, vcc_lo, s59, v16, vcc_lo
	s_delay_alu instid0(VALU_DEP_2) | instskip(NEXT) | instid1(VALU_DEP_2)
	v_add_co_u32 v15, vcc_lo, v12, v1
	v_add_co_ci_u32_e32 v16, vcc_lo, 0, v16, vcc_lo
	s_waitcnt lgkmcnt(0)
	global_store_b8 v[15:16], v10, off offset:2560
	s_or_b32 exec_lo, exec_lo, s2
	s_and_saveexec_b32 s2, s31
	s_cbranch_execz .LBB14_205
.LBB14_346:
	v_lshlrev_b32_e32 v10, 3, v76
	ds_load_b64 v[15:16], v10
	ds_load_u8 v10, v1 offset:5120
	s_waitcnt lgkmcnt(1)
	v_add_co_u32 v12, vcc_lo, s58, v15
	v_add_co_ci_u32_e32 v16, vcc_lo, s59, v16, vcc_lo
	s_delay_alu instid0(VALU_DEP_2) | instskip(NEXT) | instid1(VALU_DEP_2)
	v_add_co_u32 v15, vcc_lo, v12, v1
	v_add_co_ci_u32_e32 v16, vcc_lo, 0, v16, vcc_lo
	s_waitcnt lgkmcnt(0)
	global_store_b8 v[15:16], v10, off offset:3072
	s_or_b32 exec_lo, exec_lo, s2
	s_and_saveexec_b32 s2, s33
	s_cbranch_execz .LBB14_206
.LBB14_347:
	v_lshlrev_b32_e32 v10, 3, v75
	ds_load_b64 v[15:16], v10
	ds_load_u8 v10, v1 offset:5632
	s_waitcnt lgkmcnt(1)
	v_add_co_u32 v12, vcc_lo, s58, v15
	v_add_co_ci_u32_e32 v16, vcc_lo, s59, v16, vcc_lo
	s_delay_alu instid0(VALU_DEP_2) | instskip(NEXT) | instid1(VALU_DEP_2)
	v_add_co_u32 v15, vcc_lo, v12, v1
	v_add_co_ci_u32_e32 v16, vcc_lo, 0, v16, vcc_lo
	s_waitcnt lgkmcnt(0)
	global_store_b8 v[15:16], v10, off offset:3584
	s_or_b32 exec_lo, exec_lo, s2
	s_and_saveexec_b32 s2, s34
	s_cbranch_execz .LBB14_207
.LBB14_348:
	v_lshlrev_b32_e32 v10, 3, v73
	ds_load_b64 v[15:16], v10
	ds_load_u8 v10, v1 offset:6144
	s_waitcnt lgkmcnt(1)
	v_add_co_u32 v12, vcc_lo, s58, v15
	v_add_co_ci_u32_e32 v16, vcc_lo, s59, v16, vcc_lo
	s_delay_alu instid0(VALU_DEP_2) | instskip(NEXT) | instid1(VALU_DEP_2)
	v_add_co_u32 v15, vcc_lo, v12, v4
	v_add_co_ci_u32_e32 v16, vcc_lo, 0, v16, vcc_lo
	s_waitcnt lgkmcnt(0)
	global_store_b8 v[15:16], v10, off
	s_or_b32 exec_lo, exec_lo, s2
	s_and_saveexec_b32 s2, s35
	s_cbranch_execz .LBB14_208
.LBB14_349:
	v_lshlrev_b32_e32 v4, 3, v72
	ds_load_b64 v[15:16], v4
	ds_load_u8 v10, v1 offset:6656
	s_waitcnt lgkmcnt(1)
	v_add_co_u32 v4, vcc_lo, s58, v15
	v_add_co_ci_u32_e32 v12, vcc_lo, s59, v16, vcc_lo
	s_delay_alu instid0(VALU_DEP_2) | instskip(NEXT) | instid1(VALU_DEP_2)
	v_add_co_u32 v4, vcc_lo, v4, v5
	v_add_co_ci_u32_e32 v5, vcc_lo, 0, v12, vcc_lo
	s_waitcnt lgkmcnt(0)
	global_store_b8 v[4:5], v10, off
	s_or_b32 exec_lo, exec_lo, s2
	s_and_saveexec_b32 s2, s36
	s_cbranch_execz .LBB14_209
.LBB14_350:
	v_lshlrev_b32_e32 v4, 3, v70
	ds_load_b64 v[4:5], v4
	ds_load_u8 v10, v1 offset:7168
	s_waitcnt lgkmcnt(1)
	v_add_co_u32 v4, vcc_lo, s58, v4
	v_add_co_ci_u32_e32 v5, vcc_lo, s59, v5, vcc_lo
	s_delay_alu instid0(VALU_DEP_2) | instskip(NEXT) | instid1(VALU_DEP_2)
	v_add_co_u32 v4, vcc_lo, v4, v6
	v_add_co_ci_u32_e32 v5, vcc_lo, 0, v5, vcc_lo
	s_waitcnt lgkmcnt(0)
	global_store_b8 v[4:5], v10, off
	s_or_b32 exec_lo, exec_lo, s2
	s_and_saveexec_b32 s2, s37
	s_cbranch_execz .LBB14_210
.LBB14_351:
	v_lshlrev_b32_e32 v4, 3, v69
	ds_load_b64 v[4:5], v4
	ds_load_u8 v6, v1 offset:7680
	s_waitcnt lgkmcnt(1)
	v_add_co_u32 v4, vcc_lo, s58, v4
	v_add_co_ci_u32_e32 v5, vcc_lo, s59, v5, vcc_lo
	s_delay_alu instid0(VALU_DEP_2) | instskip(NEXT) | instid1(VALU_DEP_2)
	v_add_co_u32 v4, vcc_lo, v4, v7
	v_add_co_ci_u32_e32 v5, vcc_lo, 0, v5, vcc_lo
	s_waitcnt lgkmcnt(0)
	global_store_b8 v[4:5], v6, off
	s_or_b32 exec_lo, exec_lo, s2
	s_and_saveexec_b32 s2, s38
	s_cbranch_execz .LBB14_211
.LBB14_352:
	v_lshlrev_b32_e32 v4, 3, v67
	ds_load_b64 v[4:5], v4
	ds_load_u8 v6, v1 offset:8192
	s_waitcnt lgkmcnt(1)
	v_add_co_u32 v4, vcc_lo, s58, v4
	v_add_co_ci_u32_e32 v5, vcc_lo, s59, v5, vcc_lo
	s_delay_alu instid0(VALU_DEP_2) | instskip(NEXT) | instid1(VALU_DEP_2)
	v_add_co_u32 v4, vcc_lo, v4, v13
	v_add_co_ci_u32_e32 v5, vcc_lo, 0, v5, vcc_lo
	s_waitcnt lgkmcnt(0)
	global_store_b8 v[4:5], v6, off
	s_or_b32 exec_lo, exec_lo, s2
	s_and_saveexec_b32 s2, s39
	s_cbranch_execz .LBB14_212
.LBB14_353:
	v_lshlrev_b32_e32 v4, 3, v66
	ds_load_b64 v[4:5], v4
	ds_load_u8 v6, v1 offset:8704
	s_waitcnt lgkmcnt(1)
	v_add_co_u32 v4, vcc_lo, s58, v4
	v_add_co_ci_u32_e32 v5, vcc_lo, s59, v5, vcc_lo
	s_delay_alu instid0(VALU_DEP_2) | instskip(NEXT) | instid1(VALU_DEP_2)
	v_add_co_u32 v4, vcc_lo, v4, v14
	v_add_co_ci_u32_e32 v5, vcc_lo, 0, v5, vcc_lo
	s_waitcnt lgkmcnt(0)
	global_store_b8 v[4:5], v6, off
	s_or_b32 exec_lo, exec_lo, s2
	s_and_saveexec_b32 s2, s40
	s_cbranch_execz .LBB14_213
.LBB14_354:
	v_lshlrev_b32_e32 v4, 3, v64
	ds_load_b64 v[4:5], v4
	ds_load_u8 v6, v1 offset:9216
	s_waitcnt lgkmcnt(1)
	v_add_co_u32 v4, vcc_lo, s58, v4
	v_add_co_ci_u32_e32 v5, vcc_lo, s59, v5, vcc_lo
	s_delay_alu instid0(VALU_DEP_2) | instskip(NEXT) | instid1(VALU_DEP_2)
	v_add_co_u32 v4, vcc_lo, v4, v18
	v_add_co_ci_u32_e32 v5, vcc_lo, 0, v5, vcc_lo
	s_waitcnt lgkmcnt(0)
	global_store_b8 v[4:5], v6, off
	s_or_b32 exec_lo, exec_lo, s2
	s_and_saveexec_b32 s2, s41
	s_cbranch_execz .LBB14_214
.LBB14_355:
	v_lshlrev_b32_e32 v4, 3, v63
	ds_load_b64 v[4:5], v4
	ds_load_u8 v6, v1 offset:9728
	s_waitcnt lgkmcnt(1)
	v_add_co_u32 v4, vcc_lo, s58, v4
	v_add_co_ci_u32_e32 v5, vcc_lo, s59, v5, vcc_lo
	s_delay_alu instid0(VALU_DEP_2) | instskip(NEXT) | instid1(VALU_DEP_2)
	v_add_co_u32 v4, vcc_lo, v4, v22
	v_add_co_ci_u32_e32 v5, vcc_lo, 0, v5, vcc_lo
	s_waitcnt lgkmcnt(0)
	global_store_b8 v[4:5], v6, off
	s_or_b32 exec_lo, exec_lo, s2
	s_and_saveexec_b32 s2, s42
	s_cbranch_execz .LBB14_215
.LBB14_356:
	v_lshlrev_b32_e32 v4, 3, v62
	ds_load_b64 v[4:5], v4
	ds_load_u8 v6, v1 offset:10240
	s_waitcnt lgkmcnt(1)
	v_add_co_u32 v4, vcc_lo, s58, v4
	v_add_co_ci_u32_e32 v5, vcc_lo, s59, v5, vcc_lo
	s_delay_alu instid0(VALU_DEP_2) | instskip(NEXT) | instid1(VALU_DEP_2)
	v_add_co_u32 v4, vcc_lo, v4, v26
	v_add_co_ci_u32_e32 v5, vcc_lo, 0, v5, vcc_lo
	s_waitcnt lgkmcnt(0)
	global_store_b8 v[4:5], v6, off
	s_or_b32 exec_lo, exec_lo, s2
	s_and_saveexec_b32 s2, s43
	s_cbranch_execz .LBB14_216
.LBB14_357:
	v_lshlrev_b32_e32 v4, 3, v60
	ds_load_b64 v[4:5], v4
	ds_load_u8 v6, v1 offset:10752
	s_waitcnt lgkmcnt(1)
	v_add_co_u32 v4, vcc_lo, s58, v4
	v_add_co_ci_u32_e32 v5, vcc_lo, s59, v5, vcc_lo
	s_delay_alu instid0(VALU_DEP_2) | instskip(NEXT) | instid1(VALU_DEP_2)
	v_add_co_u32 v4, vcc_lo, v4, v30
	v_add_co_ci_u32_e32 v5, vcc_lo, 0, v5, vcc_lo
	s_waitcnt lgkmcnt(0)
	global_store_b8 v[4:5], v6, off
	s_or_b32 exec_lo, exec_lo, s2
	s_and_saveexec_b32 s2, s44
	s_cbranch_execz .LBB14_217
.LBB14_358:
	v_lshlrev_b32_e32 v4, 3, v59
	ds_load_b64 v[4:5], v4
	ds_load_u8 v6, v1 offset:11264
	s_waitcnt lgkmcnt(1)
	v_add_co_u32 v4, vcc_lo, s58, v4
	v_add_co_ci_u32_e32 v5, vcc_lo, s59, v5, vcc_lo
	s_delay_alu instid0(VALU_DEP_2) | instskip(NEXT) | instid1(VALU_DEP_2)
	v_add_co_u32 v4, vcc_lo, v4, v34
	v_add_co_ci_u32_e32 v5, vcc_lo, 0, v5, vcc_lo
	s_waitcnt lgkmcnt(0)
	global_store_b8 v[4:5], v6, off
	s_or_b32 exec_lo, exec_lo, s2
	s_and_saveexec_b32 s2, s45
	s_cbranch_execz .LBB14_218
.LBB14_359:
	v_lshlrev_b32_e32 v4, 3, v57
	ds_load_b64 v[4:5], v4
	ds_load_u8 v6, v1 offset:11776
	s_waitcnt lgkmcnt(1)
	v_add_co_u32 v4, vcc_lo, s58, v4
	v_add_co_ci_u32_e32 v5, vcc_lo, s59, v5, vcc_lo
	s_delay_alu instid0(VALU_DEP_2) | instskip(NEXT) | instid1(VALU_DEP_2)
	v_add_co_u32 v4, vcc_lo, v4, v38
	v_add_co_ci_u32_e32 v5, vcc_lo, 0, v5, vcc_lo
	s_waitcnt lgkmcnt(0)
	global_store_b8 v[4:5], v6, off
	s_or_b32 exec_lo, exec_lo, s2
	s_and_saveexec_b32 s2, s46
	s_cbranch_execz .LBB14_219
.LBB14_360:
	v_lshlrev_b32_e32 v3, 3, v3
	ds_load_b64 v[3:4], v3
	ds_load_u8 v5, v1 offset:12288
	s_waitcnt lgkmcnt(1)
	v_add_co_u32 v3, vcc_lo, s58, v3
	v_add_co_ci_u32_e32 v4, vcc_lo, s59, v4, vcc_lo
	s_delay_alu instid0(VALU_DEP_2) | instskip(NEXT) | instid1(VALU_DEP_2)
	v_add_co_u32 v3, vcc_lo, v3, v43
	v_add_co_ci_u32_e32 v4, vcc_lo, 0, v4, vcc_lo
	s_waitcnt lgkmcnt(0)
	global_store_b8 v[3:4], v5, off
	s_or_b32 exec_lo, exec_lo, s2
	s_and_saveexec_b32 s2, s47
	s_cbranch_execnz .LBB14_220
	s_branch .LBB14_221
	.section	.rodata,"a",@progbits
	.p2align	6, 0x0
	.amdhsa_kernel _ZN7rocprim17ROCPRIM_304000_NS6detail25onesweep_iteration_kernelINS1_34wrapped_radix_sort_onesweep_configINS0_14default_configEiN2at4cuda3cub6detail10OpaqueTypeILi1EEEEELb1EPKiPiPKSA_PSA_mNS0_19identity_decomposerEEEvT1_T2_T3_T4_jPT5_SO_PNS1_23onesweep_lookback_stateET6_jjj
		.amdhsa_group_segment_fixed_size 47104
		.amdhsa_private_segment_fixed_size 0
		.amdhsa_kernarg_size 336
		.amdhsa_user_sgpr_count 15
		.amdhsa_user_sgpr_dispatch_ptr 0
		.amdhsa_user_sgpr_queue_ptr 0
		.amdhsa_user_sgpr_kernarg_segment_ptr 1
		.amdhsa_user_sgpr_dispatch_id 0
		.amdhsa_user_sgpr_private_segment_size 0
		.amdhsa_wavefront_size32 1
		.amdhsa_uses_dynamic_stack 0
		.amdhsa_enable_private_segment 0
		.amdhsa_system_sgpr_workgroup_id_x 1
		.amdhsa_system_sgpr_workgroup_id_y 0
		.amdhsa_system_sgpr_workgroup_id_z 0
		.amdhsa_system_sgpr_workgroup_info 0
		.amdhsa_system_vgpr_workitem_id 2
		.amdhsa_next_free_vgpr 106
		.amdhsa_next_free_sgpr 70
		.amdhsa_reserve_vcc 1
		.amdhsa_float_round_mode_32 0
		.amdhsa_float_round_mode_16_64 0
		.amdhsa_float_denorm_mode_32 3
		.amdhsa_float_denorm_mode_16_64 3
		.amdhsa_dx10_clamp 1
		.amdhsa_ieee_mode 1
		.amdhsa_fp16_overflow 0
		.amdhsa_workgroup_processor_mode 1
		.amdhsa_memory_ordered 1
		.amdhsa_forward_progress 0
		.amdhsa_shared_vgpr_count 0
		.amdhsa_exception_fp_ieee_invalid_op 0
		.amdhsa_exception_fp_denorm_src 0
		.amdhsa_exception_fp_ieee_div_zero 0
		.amdhsa_exception_fp_ieee_overflow 0
		.amdhsa_exception_fp_ieee_underflow 0
		.amdhsa_exception_fp_ieee_inexact 0
		.amdhsa_exception_int_div_zero 0
	.end_amdhsa_kernel
	.section	.text._ZN7rocprim17ROCPRIM_304000_NS6detail25onesweep_iteration_kernelINS1_34wrapped_radix_sort_onesweep_configINS0_14default_configEiN2at4cuda3cub6detail10OpaqueTypeILi1EEEEELb1EPKiPiPKSA_PSA_mNS0_19identity_decomposerEEEvT1_T2_T3_T4_jPT5_SO_PNS1_23onesweep_lookback_stateET6_jjj,"axG",@progbits,_ZN7rocprim17ROCPRIM_304000_NS6detail25onesweep_iteration_kernelINS1_34wrapped_radix_sort_onesweep_configINS0_14default_configEiN2at4cuda3cub6detail10OpaqueTypeILi1EEEEELb1EPKiPiPKSA_PSA_mNS0_19identity_decomposerEEEvT1_T2_T3_T4_jPT5_SO_PNS1_23onesweep_lookback_stateET6_jjj,comdat
.Lfunc_end14:
	.size	_ZN7rocprim17ROCPRIM_304000_NS6detail25onesweep_iteration_kernelINS1_34wrapped_radix_sort_onesweep_configINS0_14default_configEiN2at4cuda3cub6detail10OpaqueTypeILi1EEEEELb1EPKiPiPKSA_PSA_mNS0_19identity_decomposerEEEvT1_T2_T3_T4_jPT5_SO_PNS1_23onesweep_lookback_stateET6_jjj, .Lfunc_end14-_ZN7rocprim17ROCPRIM_304000_NS6detail25onesweep_iteration_kernelINS1_34wrapped_radix_sort_onesweep_configINS0_14default_configEiN2at4cuda3cub6detail10OpaqueTypeILi1EEEEELb1EPKiPiPKSA_PSA_mNS0_19identity_decomposerEEEvT1_T2_T3_T4_jPT5_SO_PNS1_23onesweep_lookback_stateET6_jjj
                                        ; -- End function
	.section	.AMDGPU.csdata,"",@progbits
; Kernel info:
; codeLenInByte = 32156
; NumSgprs: 72
; NumVgprs: 106
; ScratchSize: 0
; MemoryBound: 0
; FloatMode: 240
; IeeeMode: 1
; LDSByteSize: 47104 bytes/workgroup (compile time only)
; SGPRBlocks: 8
; VGPRBlocks: 13
; NumSGPRsForWavesPerEU: 72
; NumVGPRsForWavesPerEU: 106
; Occupancy: 8
; WaveLimiterHint : 1
; COMPUTE_PGM_RSRC2:SCRATCH_EN: 0
; COMPUTE_PGM_RSRC2:USER_SGPR: 15
; COMPUTE_PGM_RSRC2:TRAP_HANDLER: 0
; COMPUTE_PGM_RSRC2:TGID_X_EN: 1
; COMPUTE_PGM_RSRC2:TGID_Y_EN: 0
; COMPUTE_PGM_RSRC2:TGID_Z_EN: 0
; COMPUTE_PGM_RSRC2:TIDIG_COMP_CNT: 2
	.section	.text._ZN7rocprim17ROCPRIM_304000_NS6detail25onesweep_iteration_kernelINS1_34wrapped_radix_sort_onesweep_configINS0_14default_configEiN2at4cuda3cub6detail10OpaqueTypeILi1EEEEELb1EPiSC_PSA_SD_mNS0_19identity_decomposerEEEvT1_T2_T3_T4_jPT5_SK_PNS1_23onesweep_lookback_stateET6_jjj,"axG",@progbits,_ZN7rocprim17ROCPRIM_304000_NS6detail25onesweep_iteration_kernelINS1_34wrapped_radix_sort_onesweep_configINS0_14default_configEiN2at4cuda3cub6detail10OpaqueTypeILi1EEEEELb1EPiSC_PSA_SD_mNS0_19identity_decomposerEEEvT1_T2_T3_T4_jPT5_SK_PNS1_23onesweep_lookback_stateET6_jjj,comdat
	.protected	_ZN7rocprim17ROCPRIM_304000_NS6detail25onesweep_iteration_kernelINS1_34wrapped_radix_sort_onesweep_configINS0_14default_configEiN2at4cuda3cub6detail10OpaqueTypeILi1EEEEELb1EPiSC_PSA_SD_mNS0_19identity_decomposerEEEvT1_T2_T3_T4_jPT5_SK_PNS1_23onesweep_lookback_stateET6_jjj ; -- Begin function _ZN7rocprim17ROCPRIM_304000_NS6detail25onesweep_iteration_kernelINS1_34wrapped_radix_sort_onesweep_configINS0_14default_configEiN2at4cuda3cub6detail10OpaqueTypeILi1EEEEELb1EPiSC_PSA_SD_mNS0_19identity_decomposerEEEvT1_T2_T3_T4_jPT5_SK_PNS1_23onesweep_lookback_stateET6_jjj
	.globl	_ZN7rocprim17ROCPRIM_304000_NS6detail25onesweep_iteration_kernelINS1_34wrapped_radix_sort_onesweep_configINS0_14default_configEiN2at4cuda3cub6detail10OpaqueTypeILi1EEEEELb1EPiSC_PSA_SD_mNS0_19identity_decomposerEEEvT1_T2_T3_T4_jPT5_SK_PNS1_23onesweep_lookback_stateET6_jjj
	.p2align	8
	.type	_ZN7rocprim17ROCPRIM_304000_NS6detail25onesweep_iteration_kernelINS1_34wrapped_radix_sort_onesweep_configINS0_14default_configEiN2at4cuda3cub6detail10OpaqueTypeILi1EEEEELb1EPiSC_PSA_SD_mNS0_19identity_decomposerEEEvT1_T2_T3_T4_jPT5_SK_PNS1_23onesweep_lookback_stateET6_jjj,@function
_ZN7rocprim17ROCPRIM_304000_NS6detail25onesweep_iteration_kernelINS1_34wrapped_radix_sort_onesweep_configINS0_14default_configEiN2at4cuda3cub6detail10OpaqueTypeILi1EEEEELb1EPiSC_PSA_SD_mNS0_19identity_decomposerEEEvT1_T2_T3_T4_jPT5_SK_PNS1_23onesweep_lookback_stateET6_jjj: ; @_ZN7rocprim17ROCPRIM_304000_NS6detail25onesweep_iteration_kernelINS1_34wrapped_radix_sort_onesweep_configINS0_14default_configEiN2at4cuda3cub6detail10OpaqueTypeILi1EEEEELb1EPiSC_PSA_SD_mNS0_19identity_decomposerEEEvT1_T2_T3_T4_jPT5_SK_PNS1_23onesweep_lookback_stateET6_jjj
; %bb.0:
	s_clause 0x3
	s_load_b128 s[64:67], s[0:1], 0x44
	s_load_b256 s[52:59], s[0:1], 0x0
	s_load_b128 s[60:63], s[0:1], 0x28
	s_load_b64 s[68:69], s[0:1], 0x38
	v_and_b32_e32 v1, 0x3ff, v0
	v_mbcnt_lo_u32_b32 v11, -1, 0
	s_mul_i32 s50, s15, 0x2c00
	s_waitcnt lgkmcnt(0)
	s_cmp_ge_u32 s15, s66
	s_cbranch_scc0 .LBB15_224
; %bb.1:
	s_load_b32 s4, s[0:1], 0x20
	v_and_b32_e32 v12, 0x1e0, v1
	s_mov_b32 s51, 0
	s_mul_i32 s48, s66, 0xffffd400
	v_lshlrev_b32_e32 v2, 2, v11
	s_lshl_b64 s[2:3], s[50:51], 2
	v_mul_u32_u24_e32 v10, 22, v12
	v_bfrev_b32_e32 v14, 1
	v_bfrev_b32_e32 v13, 1
	s_delay_alu instid0(VALU_DEP_3)
	v_lshlrev_b32_e32 v3, 2, v10
	v_or_b32_e32 v15, v11, v10
	s_waitcnt lgkmcnt(0)
	s_add_i32 s48, s48, s4
	s_add_u32 s2, s52, s2
	s_addc_u32 s3, s53, s3
	v_add_co_u32 v2, s2, s2, v2
	s_delay_alu instid0(VALU_DEP_1) | instskip(SKIP_1) | instid1(VALU_DEP_3)
	v_add_co_ci_u32_e64 v4, null, s3, 0, s2
	v_cmp_gt_u32_e32 vcc_lo, s48, v15
	v_add_co_u32 v2, s2, v2, v3
	s_delay_alu instid0(VALU_DEP_1)
	v_add_co_ci_u32_e64 v3, s2, 0, v4, s2
	s_and_saveexec_b32 s2, vcc_lo
	s_cbranch_execz .LBB15_3
; %bb.2:
	global_load_b32 v13, v[2:3], off
.LBB15_3:
	s_or_b32 exec_lo, exec_lo, s2
	v_add_nc_u32_e32 v4, 32, v15
	s_delay_alu instid0(VALU_DEP_1) | instskip(NEXT) | instid1(VALU_DEP_1)
	v_cmp_gt_u32_e64 s2, s48, v4
	s_and_saveexec_b32 s3, s2
	s_cbranch_execz .LBB15_5
; %bb.4:
	global_load_b32 v14, v[2:3], off offset:128
.LBB15_5:
	s_or_b32 exec_lo, exec_lo, s3
	v_add_nc_u32_e32 v4, 64, v15
	v_bfrev_b32_e32 v22, 1
	v_bfrev_b32_e32 v18, 1
	s_delay_alu instid0(VALU_DEP_3) | instskip(NEXT) | instid1(VALU_DEP_1)
	v_cmp_gt_u32_e64 s3, s48, v4
	s_and_saveexec_b32 s4, s3
	s_cbranch_execz .LBB15_7
; %bb.6:
	global_load_b32 v18, v[2:3], off offset:256
.LBB15_7:
	s_or_b32 exec_lo, exec_lo, s4
	v_add_nc_u32_e32 v4, 0x60, v15
	s_delay_alu instid0(VALU_DEP_1) | instskip(NEXT) | instid1(VALU_DEP_1)
	v_cmp_gt_u32_e64 s4, s48, v4
	s_and_saveexec_b32 s5, s4
	s_cbranch_execz .LBB15_9
; %bb.8:
	global_load_b32 v22, v[2:3], off offset:384
.LBB15_9:
	s_or_b32 exec_lo, exec_lo, s5
	v_add_nc_u32_e32 v4, 0x80, v15
	v_bfrev_b32_e32 v30, 1
	v_bfrev_b32_e32 v26, 1
	s_delay_alu instid0(VALU_DEP_3) | instskip(NEXT) | instid1(VALU_DEP_1)
	v_cmp_gt_u32_e64 s5, s48, v4
	s_and_saveexec_b32 s6, s5
	s_cbranch_execz .LBB15_11
; %bb.10:
	global_load_b32 v26, v[2:3], off offset:512
.LBB15_11:
	;; [unrolled: 20-line block ×9, first 2 shown]
	s_or_b32 exec_lo, exec_lo, s21
	v_add_nc_u32_e32 v4, 0x260, v15
	s_delay_alu instid0(VALU_DEP_1) | instskip(NEXT) | instid1(VALU_DEP_1)
	v_cmp_gt_u32_e64 s21, s48, v4
	s_and_saveexec_b32 s22, s21
	s_cbranch_execz .LBB15_41
; %bb.40:
	global_load_b32 v6, v[2:3], off offset:2432
.LBB15_41:
	s_or_b32 exec_lo, exec_lo, s22
	v_add_nc_u32_e32 v5, 0x280, v15
	v_bfrev_b32_e32 v4, 1
	s_delay_alu instid0(VALU_DEP_2) | instskip(SKIP_1) | instid1(VALU_DEP_2)
	v_cmp_gt_u32_e64 s22, s48, v5
	v_bfrev_b32_e32 v5, 1
	s_and_saveexec_b32 s23, s22
	s_cbranch_execz .LBB15_43
; %bb.42:
	global_load_b32 v5, v[2:3], off offset:2560
.LBB15_43:
	s_or_b32 exec_lo, exec_lo, s23
	v_add_nc_u32_e32 v15, 0x2a0, v15
	s_delay_alu instid0(VALU_DEP_1) | instskip(NEXT) | instid1(VALU_DEP_1)
	v_cmp_gt_u32_e64 s23, s48, v15
	s_and_saveexec_b32 s24, s23
	s_cbranch_execz .LBB15_45
; %bb.44:
	global_load_b32 v4, v[2:3], off offset:2688
.LBB15_45:
	s_or_b32 exec_lo, exec_lo, s24
	s_clause 0x1
	s_load_b32 s24, s[0:1], 0x5c
	s_load_b32 s49, s[0:1], 0x50
	s_add_u32 s25, s0, 0x50
	s_addc_u32 s26, s1, 0
	v_mov_b32_e32 v17, 0
	s_waitcnt vmcnt(0)
	v_xor_b32_e32 v13, 0x7fffffff, v13
	s_delay_alu instid0(VALU_DEP_1) | instskip(SKIP_4) | instid1(SALU_CYCLE_1)
	v_lshrrev_b32_e32 v2, s64, v13
	s_waitcnt lgkmcnt(0)
	s_lshr_b32 s27, s24, 16
	s_cmp_lt_u32 s15, s49
	s_cselect_b32 s24, 12, 18
	s_add_u32 s24, s25, s24
	s_addc_u32 s25, s26, 0
	global_load_u16 v15, v17, s[24:25]
	s_lshl_b32 s24, -1, s65
	s_delay_alu instid0(SALU_CYCLE_1) | instskip(NEXT) | instid1(SALU_CYCLE_1)
	s_not_b32 s51, s24
	v_and_b32_e32 v19, s51, v2
	v_bfe_u32 v2, v0, 10, 10
	s_delay_alu instid0(VALU_DEP_2)
	v_lshlrev_b32_e32 v16, 30, v19
	v_and_b32_e32 v3, 1, v19
	v_lshlrev_b32_e32 v20, 29, v19
	v_lshlrev_b32_e32 v21, 28, v19
	;; [unrolled: 1-line block ×3, first 2 shown]
	v_not_b32_e32 v28, v16
	v_add_co_u32 v3, s24, v3, -1
	s_delay_alu instid0(VALU_DEP_1)
	v_cndmask_b32_e64 v23, 0, 1, s24
	v_cmp_gt_i32_e64 s25, 0, v16
	v_not_b32_e32 v16, v20
	v_ashrrev_i32_e32 v28, 31, v28
	v_lshlrev_b32_e32 v25, 26, v19
	v_cmp_ne_u32_e64 s24, 0, v23
	v_lshlrev_b32_e32 v27, 25, v19
	v_ashrrev_i32_e32 v16, 31, v16
	v_xor_b32_e32 v28, s25, v28
	v_cmp_gt_i32_e64 s25, 0, v21
	v_xor_b32_e32 v3, s24, v3
	v_cmp_gt_i32_e64 s24, 0, v20
	v_not_b32_e32 v20, v21
	v_not_b32_e32 v21, v24
	v_lshlrev_b32_e32 v23, 24, v19
	v_and_b32_e32 v3, exec_lo, v3
	v_xor_b32_e32 v16, s24, v16
	v_ashrrev_i32_e32 v20, 31, v20
	v_cmp_gt_i32_e64 s24, 0, v24
	v_not_b32_e32 v24, v25
	v_and_b32_e32 v3, v3, v28
	v_ashrrev_i32_e32 v21, 31, v21
	v_xor_b32_e32 v20, s25, v20
	v_cmp_gt_i32_e64 s25, 0, v25
	v_ashrrev_i32_e32 v24, 31, v24
	v_and_b32_e32 v3, v3, v16
	v_not_b32_e32 v16, v27
	v_xor_b32_e32 v21, s24, v21
	v_cmp_gt_i32_e64 s24, 0, v27
	v_xor_b32_e32 v24, s25, v24
	v_and_b32_e32 v3, v3, v20
	v_not_b32_e32 v20, v23
	v_ashrrev_i32_e32 v16, 31, v16
	v_cmp_gt_i32_e64 s25, 0, v23
	v_mul_u32_u24_e32 v23, 9, v1
	v_and_b32_e32 v3, v3, v21
	v_bfe_u32 v21, v0, 20, 10
	v_ashrrev_i32_e32 v20, 31, v20
	v_xor_b32_e32 v16, s24, v16
	s_delay_alu instid0(VALU_DEP_4) | instskip(NEXT) | instid1(VALU_DEP_4)
	v_and_b32_e32 v3, v3, v24
	v_mad_u32_u24 v21, v21, s27, v2
	s_delay_alu instid0(VALU_DEP_4) | instskip(NEXT) | instid1(VALU_DEP_3)
	v_xor_b32_e32 v20, s25, v20
	v_and_b32_e32 v24, v3, v16
	v_lshlrev_b32_e32 v16, 2, v23
	ds_store_2addr_b32 v16, v17, v17 offset0:16 offset1:17
	ds_store_2addr_b32 v16, v17, v17 offset0:18 offset1:19
	;; [unrolled: 1-line block ×4, first 2 shown]
	ds_store_b32 v16, v17 offset:96
	v_lshl_add_u32 v17, v19, 4, v19
	s_waitcnt vmcnt(0) lgkmcnt(0)
	s_barrier
	buffer_gl0_inv
	; wave barrier
	v_mad_u64_u32 v[2:3], null, v21, v15, v[1:2]
	v_and_b32_e32 v3, v24, v20
	s_delay_alu instid0(VALU_DEP_1) | instskip(NEXT) | instid1(VALU_DEP_3)
	v_mbcnt_lo_u32_b32 v15, v3, 0
	v_lshrrev_b32_e32 v2, 5, v2
	v_cmp_ne_u32_e64 s25, 0, v3
	s_delay_alu instid0(VALU_DEP_3) | instskip(NEXT) | instid1(VALU_DEP_3)
	v_cmp_eq_u32_e64 s24, 0, v15
	v_add_lshl_u32 v17, v2, v17, 2
	s_delay_alu instid0(VALU_DEP_2) | instskip(NEXT) | instid1(SALU_CYCLE_1)
	s_and_b32 s25, s25, s24
	s_and_saveexec_b32 s24, s25
	s_cbranch_execz .LBB15_47
; %bb.46:
	v_bcnt_u32_b32 v3, v3, 0
	ds_store_b32 v17, v3 offset:64
.LBB15_47:
	s_or_b32 exec_lo, exec_lo, s24
	v_xor_b32_e32 v14, 0x7fffffff, v14
	; wave barrier
	s_delay_alu instid0(VALU_DEP_1) | instskip(NEXT) | instid1(VALU_DEP_1)
	v_lshrrev_b32_e32 v3, s64, v14
	v_and_b32_e32 v3, s51, v3
	s_delay_alu instid0(VALU_DEP_1)
	v_and_b32_e32 v19, 1, v3
	v_lshlrev_b32_e32 v20, 30, v3
	v_lshlrev_b32_e32 v21, 29, v3
	;; [unrolled: 1-line block ×4, first 2 shown]
	v_add_co_u32 v19, s24, v19, -1
	s_delay_alu instid0(VALU_DEP_1)
	v_cndmask_b32_e64 v24, 0, 1, s24
	v_not_b32_e32 v29, v20
	v_cmp_gt_i32_e64 s25, 0, v20
	v_not_b32_e32 v20, v21
	v_lshlrev_b32_e32 v27, 26, v3
	v_cmp_ne_u32_e64 s24, 0, v24
	v_ashrrev_i32_e32 v29, 31, v29
	v_lshlrev_b32_e32 v28, 25, v3
	v_ashrrev_i32_e32 v20, 31, v20
	v_lshlrev_b32_e32 v24, 24, v3
	v_xor_b32_e32 v19, s24, v19
	v_cmp_gt_i32_e64 s24, 0, v21
	v_not_b32_e32 v21, v23
	v_xor_b32_e32 v29, s25, v29
	v_cmp_gt_i32_e64 s25, 0, v23
	v_and_b32_e32 v19, exec_lo, v19
	v_not_b32_e32 v23, v25
	v_ashrrev_i32_e32 v21, 31, v21
	v_xor_b32_e32 v20, s24, v20
	v_cmp_gt_i32_e64 s24, 0, v25
	v_and_b32_e32 v19, v19, v29
	v_not_b32_e32 v25, v27
	v_ashrrev_i32_e32 v23, 31, v23
	v_xor_b32_e32 v21, s25, v21
	v_cmp_gt_i32_e64 s25, 0, v27
	v_and_b32_e32 v19, v19, v20
	v_not_b32_e32 v20, v28
	v_ashrrev_i32_e32 v25, 31, v25
	v_xor_b32_e32 v23, s24, v23
	v_cmp_gt_i32_e64 s24, 0, v28
	v_and_b32_e32 v19, v19, v21
	v_not_b32_e32 v21, v24
	v_ashrrev_i32_e32 v20, 31, v20
	v_xor_b32_e32 v25, s25, v25
	v_lshl_add_u32 v3, v3, 4, v3
	v_and_b32_e32 v19, v19, v23
	v_cmp_gt_i32_e64 s25, 0, v24
	v_ashrrev_i32_e32 v23, 31, v21
	v_xor_b32_e32 v20, s24, v20
	v_add_lshl_u32 v21, v2, v3, 2
	v_and_b32_e32 v19, v19, v25
	s_delay_alu instid0(VALU_DEP_4) | instskip(NEXT) | instid1(VALU_DEP_2)
	v_xor_b32_e32 v3, s25, v23
	v_and_b32_e32 v20, v19, v20
	ds_load_b32 v19, v21 offset:64
	; wave barrier
	v_and_b32_e32 v3, v20, v3
	s_delay_alu instid0(VALU_DEP_1) | instskip(SKIP_1) | instid1(VALU_DEP_2)
	v_mbcnt_lo_u32_b32 v20, v3, 0
	v_cmp_ne_u32_e64 s25, 0, v3
	v_cmp_eq_u32_e64 s24, 0, v20
	s_delay_alu instid0(VALU_DEP_1) | instskip(NEXT) | instid1(SALU_CYCLE_1)
	s_and_b32 s25, s25, s24
	s_and_saveexec_b32 s24, s25
	s_cbranch_execz .LBB15_49
; %bb.48:
	s_waitcnt lgkmcnt(0)
	v_bcnt_u32_b32 v3, v3, v19
	ds_store_b32 v21, v3 offset:64
.LBB15_49:
	s_or_b32 exec_lo, exec_lo, s24
	v_xor_b32_e32 v18, 0x7fffffff, v18
	; wave barrier
	s_delay_alu instid0(VALU_DEP_1) | instskip(NEXT) | instid1(VALU_DEP_1)
	v_lshrrev_b32_e32 v3, s64, v18
	v_and_b32_e32 v3, s51, v3
	s_delay_alu instid0(VALU_DEP_1)
	v_and_b32_e32 v23, 1, v3
	v_lshlrev_b32_e32 v24, 30, v3
	v_lshlrev_b32_e32 v25, 29, v3
	;; [unrolled: 1-line block ×4, first 2 shown]
	v_add_co_u32 v23, s24, v23, -1
	s_delay_alu instid0(VALU_DEP_1)
	v_cndmask_b32_e64 v28, 0, 1, s24
	v_not_b32_e32 v33, v24
	v_cmp_gt_i32_e64 s25, 0, v24
	v_not_b32_e32 v24, v25
	v_lshlrev_b32_e32 v31, 26, v3
	v_cmp_ne_u32_e64 s24, 0, v28
	v_ashrrev_i32_e32 v33, 31, v33
	v_lshlrev_b32_e32 v32, 25, v3
	v_ashrrev_i32_e32 v24, 31, v24
	v_lshlrev_b32_e32 v28, 24, v3
	v_xor_b32_e32 v23, s24, v23
	v_cmp_gt_i32_e64 s24, 0, v25
	v_not_b32_e32 v25, v27
	v_xor_b32_e32 v33, s25, v33
	v_cmp_gt_i32_e64 s25, 0, v27
	v_and_b32_e32 v23, exec_lo, v23
	v_not_b32_e32 v27, v29
	v_ashrrev_i32_e32 v25, 31, v25
	v_xor_b32_e32 v24, s24, v24
	v_cmp_gt_i32_e64 s24, 0, v29
	v_and_b32_e32 v23, v23, v33
	v_not_b32_e32 v29, v31
	v_ashrrev_i32_e32 v27, 31, v27
	v_xor_b32_e32 v25, s25, v25
	v_cmp_gt_i32_e64 s25, 0, v31
	v_and_b32_e32 v23, v23, v24
	;; [unrolled: 5-line block ×3, first 2 shown]
	v_not_b32_e32 v25, v28
	v_ashrrev_i32_e32 v24, 31, v24
	v_xor_b32_e32 v29, s25, v29
	v_lshl_add_u32 v3, v3, 4, v3
	v_and_b32_e32 v23, v23, v27
	v_cmp_gt_i32_e64 s25, 0, v28
	v_ashrrev_i32_e32 v27, 31, v25
	v_xor_b32_e32 v24, s24, v24
	v_add_lshl_u32 v25, v2, v3, 2
	v_and_b32_e32 v23, v23, v29
	s_delay_alu instid0(VALU_DEP_4) | instskip(NEXT) | instid1(VALU_DEP_2)
	v_xor_b32_e32 v3, s25, v27
	v_and_b32_e32 v24, v23, v24
	ds_load_b32 v23, v25 offset:64
	; wave barrier
	v_and_b32_e32 v3, v24, v3
	s_delay_alu instid0(VALU_DEP_1) | instskip(SKIP_1) | instid1(VALU_DEP_2)
	v_mbcnt_lo_u32_b32 v24, v3, 0
	v_cmp_ne_u32_e64 s25, 0, v3
	v_cmp_eq_u32_e64 s24, 0, v24
	s_delay_alu instid0(VALU_DEP_1) | instskip(NEXT) | instid1(SALU_CYCLE_1)
	s_and_b32 s25, s25, s24
	s_and_saveexec_b32 s24, s25
	s_cbranch_execz .LBB15_51
; %bb.50:
	s_waitcnt lgkmcnt(0)
	v_bcnt_u32_b32 v3, v3, v23
	ds_store_b32 v25, v3 offset:64
.LBB15_51:
	s_or_b32 exec_lo, exec_lo, s24
	v_xor_b32_e32 v22, 0x7fffffff, v22
	; wave barrier
	s_delay_alu instid0(VALU_DEP_1) | instskip(NEXT) | instid1(VALU_DEP_1)
	v_lshrrev_b32_e32 v3, s64, v22
	v_and_b32_e32 v3, s51, v3
	s_delay_alu instid0(VALU_DEP_1)
	v_and_b32_e32 v27, 1, v3
	v_lshlrev_b32_e32 v28, 30, v3
	v_lshlrev_b32_e32 v29, 29, v3
	;; [unrolled: 1-line block ×4, first 2 shown]
	v_add_co_u32 v27, s24, v27, -1
	s_delay_alu instid0(VALU_DEP_1)
	v_cndmask_b32_e64 v32, 0, 1, s24
	v_not_b32_e32 v37, v28
	v_cmp_gt_i32_e64 s25, 0, v28
	v_not_b32_e32 v28, v29
	v_lshlrev_b32_e32 v35, 26, v3
	v_cmp_ne_u32_e64 s24, 0, v32
	v_ashrrev_i32_e32 v37, 31, v37
	v_lshlrev_b32_e32 v36, 25, v3
	v_ashrrev_i32_e32 v28, 31, v28
	v_lshlrev_b32_e32 v32, 24, v3
	v_xor_b32_e32 v27, s24, v27
	v_cmp_gt_i32_e64 s24, 0, v29
	v_not_b32_e32 v29, v31
	v_xor_b32_e32 v37, s25, v37
	v_cmp_gt_i32_e64 s25, 0, v31
	v_and_b32_e32 v27, exec_lo, v27
	v_not_b32_e32 v31, v33
	v_ashrrev_i32_e32 v29, 31, v29
	v_xor_b32_e32 v28, s24, v28
	v_cmp_gt_i32_e64 s24, 0, v33
	v_and_b32_e32 v27, v27, v37
	v_not_b32_e32 v33, v35
	v_ashrrev_i32_e32 v31, 31, v31
	v_xor_b32_e32 v29, s25, v29
	v_cmp_gt_i32_e64 s25, 0, v35
	v_and_b32_e32 v27, v27, v28
	;; [unrolled: 5-line block ×3, first 2 shown]
	v_not_b32_e32 v29, v32
	v_ashrrev_i32_e32 v28, 31, v28
	v_xor_b32_e32 v33, s25, v33
	v_lshl_add_u32 v3, v3, 4, v3
	v_and_b32_e32 v27, v27, v31
	v_cmp_gt_i32_e64 s25, 0, v32
	v_ashrrev_i32_e32 v31, 31, v29
	v_xor_b32_e32 v28, s24, v28
	v_add_lshl_u32 v29, v2, v3, 2
	v_and_b32_e32 v27, v27, v33
	s_delay_alu instid0(VALU_DEP_4) | instskip(NEXT) | instid1(VALU_DEP_2)
	v_xor_b32_e32 v3, s25, v31
	v_and_b32_e32 v28, v27, v28
	ds_load_b32 v27, v29 offset:64
	; wave barrier
	v_and_b32_e32 v3, v28, v3
	s_delay_alu instid0(VALU_DEP_1) | instskip(SKIP_1) | instid1(VALU_DEP_2)
	v_mbcnt_lo_u32_b32 v28, v3, 0
	v_cmp_ne_u32_e64 s25, 0, v3
	v_cmp_eq_u32_e64 s24, 0, v28
	s_delay_alu instid0(VALU_DEP_1) | instskip(NEXT) | instid1(SALU_CYCLE_1)
	s_and_b32 s25, s25, s24
	s_and_saveexec_b32 s24, s25
	s_cbranch_execz .LBB15_53
; %bb.52:
	s_waitcnt lgkmcnt(0)
	v_bcnt_u32_b32 v3, v3, v27
	ds_store_b32 v29, v3 offset:64
.LBB15_53:
	s_or_b32 exec_lo, exec_lo, s24
	v_xor_b32_e32 v26, 0x7fffffff, v26
	; wave barrier
	s_delay_alu instid0(VALU_DEP_1) | instskip(NEXT) | instid1(VALU_DEP_1)
	v_lshrrev_b32_e32 v3, s64, v26
	v_and_b32_e32 v3, s51, v3
	s_delay_alu instid0(VALU_DEP_1)
	v_and_b32_e32 v31, 1, v3
	v_lshlrev_b32_e32 v32, 30, v3
	v_lshlrev_b32_e32 v33, 29, v3
	;; [unrolled: 1-line block ×4, first 2 shown]
	v_add_co_u32 v31, s24, v31, -1
	s_delay_alu instid0(VALU_DEP_1)
	v_cndmask_b32_e64 v36, 0, 1, s24
	v_not_b32_e32 v41, v32
	v_cmp_gt_i32_e64 s25, 0, v32
	v_not_b32_e32 v32, v33
	v_lshlrev_b32_e32 v39, 26, v3
	v_cmp_ne_u32_e64 s24, 0, v36
	v_ashrrev_i32_e32 v41, 31, v41
	v_lshlrev_b32_e32 v40, 25, v3
	v_ashrrev_i32_e32 v32, 31, v32
	v_lshlrev_b32_e32 v36, 24, v3
	v_xor_b32_e32 v31, s24, v31
	v_cmp_gt_i32_e64 s24, 0, v33
	v_not_b32_e32 v33, v35
	v_xor_b32_e32 v41, s25, v41
	v_cmp_gt_i32_e64 s25, 0, v35
	v_and_b32_e32 v31, exec_lo, v31
	v_not_b32_e32 v35, v37
	v_ashrrev_i32_e32 v33, 31, v33
	v_xor_b32_e32 v32, s24, v32
	v_cmp_gt_i32_e64 s24, 0, v37
	v_and_b32_e32 v31, v31, v41
	v_not_b32_e32 v37, v39
	v_ashrrev_i32_e32 v35, 31, v35
	v_xor_b32_e32 v33, s25, v33
	v_cmp_gt_i32_e64 s25, 0, v39
	v_and_b32_e32 v31, v31, v32
	;; [unrolled: 5-line block ×3, first 2 shown]
	v_not_b32_e32 v33, v36
	v_ashrrev_i32_e32 v32, 31, v32
	v_xor_b32_e32 v37, s25, v37
	v_lshl_add_u32 v3, v3, 4, v3
	v_and_b32_e32 v31, v31, v35
	v_cmp_gt_i32_e64 s25, 0, v36
	v_ashrrev_i32_e32 v35, 31, v33
	v_xor_b32_e32 v32, s24, v32
	v_add_lshl_u32 v33, v2, v3, 2
	v_and_b32_e32 v31, v31, v37
	s_delay_alu instid0(VALU_DEP_4) | instskip(NEXT) | instid1(VALU_DEP_2)
	v_xor_b32_e32 v3, s25, v35
	v_and_b32_e32 v32, v31, v32
	ds_load_b32 v31, v33 offset:64
	; wave barrier
	v_and_b32_e32 v3, v32, v3
	s_delay_alu instid0(VALU_DEP_1) | instskip(SKIP_1) | instid1(VALU_DEP_2)
	v_mbcnt_lo_u32_b32 v32, v3, 0
	v_cmp_ne_u32_e64 s25, 0, v3
	v_cmp_eq_u32_e64 s24, 0, v32
	s_delay_alu instid0(VALU_DEP_1) | instskip(NEXT) | instid1(SALU_CYCLE_1)
	s_and_b32 s25, s25, s24
	s_and_saveexec_b32 s24, s25
	s_cbranch_execz .LBB15_55
; %bb.54:
	s_waitcnt lgkmcnt(0)
	v_bcnt_u32_b32 v3, v3, v31
	ds_store_b32 v33, v3 offset:64
.LBB15_55:
	s_or_b32 exec_lo, exec_lo, s24
	v_xor_b32_e32 v30, 0x7fffffff, v30
	; wave barrier
	s_delay_alu instid0(VALU_DEP_1) | instskip(NEXT) | instid1(VALU_DEP_1)
	v_lshrrev_b32_e32 v3, s64, v30
	v_and_b32_e32 v3, s51, v3
	s_delay_alu instid0(VALU_DEP_1)
	v_and_b32_e32 v35, 1, v3
	v_lshlrev_b32_e32 v36, 30, v3
	v_lshlrev_b32_e32 v37, 29, v3
	;; [unrolled: 1-line block ×4, first 2 shown]
	v_add_co_u32 v35, s24, v35, -1
	s_delay_alu instid0(VALU_DEP_1)
	v_cndmask_b32_e64 v40, 0, 1, s24
	v_not_b32_e32 v46, v36
	v_cmp_gt_i32_e64 s25, 0, v36
	v_not_b32_e32 v36, v37
	v_lshlrev_b32_e32 v44, 26, v3
	v_cmp_ne_u32_e64 s24, 0, v40
	v_ashrrev_i32_e32 v46, 31, v46
	v_lshlrev_b32_e32 v45, 25, v3
	v_ashrrev_i32_e32 v36, 31, v36
	v_lshlrev_b32_e32 v40, 24, v3
	v_xor_b32_e32 v35, s24, v35
	v_cmp_gt_i32_e64 s24, 0, v37
	v_not_b32_e32 v37, v39
	v_xor_b32_e32 v46, s25, v46
	v_cmp_gt_i32_e64 s25, 0, v39
	v_and_b32_e32 v35, exec_lo, v35
	v_not_b32_e32 v39, v41
	v_ashrrev_i32_e32 v37, 31, v37
	v_xor_b32_e32 v36, s24, v36
	v_cmp_gt_i32_e64 s24, 0, v41
	v_and_b32_e32 v35, v35, v46
	v_not_b32_e32 v41, v44
	v_ashrrev_i32_e32 v39, 31, v39
	v_xor_b32_e32 v37, s25, v37
	v_cmp_gt_i32_e64 s25, 0, v44
	v_and_b32_e32 v35, v35, v36
	;; [unrolled: 5-line block ×3, first 2 shown]
	v_not_b32_e32 v37, v40
	v_ashrrev_i32_e32 v36, 31, v36
	v_xor_b32_e32 v41, s25, v41
	v_lshl_add_u32 v3, v3, 4, v3
	v_and_b32_e32 v35, v35, v39
	v_cmp_gt_i32_e64 s25, 0, v40
	v_ashrrev_i32_e32 v39, 31, v37
	v_xor_b32_e32 v36, s24, v36
	v_add_lshl_u32 v37, v2, v3, 2
	v_and_b32_e32 v35, v35, v41
	s_delay_alu instid0(VALU_DEP_4) | instskip(NEXT) | instid1(VALU_DEP_2)
	v_xor_b32_e32 v3, s25, v39
	v_and_b32_e32 v36, v35, v36
	ds_load_b32 v35, v37 offset:64
	; wave barrier
	v_and_b32_e32 v3, v36, v3
	s_delay_alu instid0(VALU_DEP_1) | instskip(SKIP_1) | instid1(VALU_DEP_2)
	v_mbcnt_lo_u32_b32 v36, v3, 0
	v_cmp_ne_u32_e64 s25, 0, v3
	v_cmp_eq_u32_e64 s24, 0, v36
	s_delay_alu instid0(VALU_DEP_1) | instskip(NEXT) | instid1(SALU_CYCLE_1)
	s_and_b32 s25, s25, s24
	s_and_saveexec_b32 s24, s25
	s_cbranch_execz .LBB15_57
; %bb.56:
	s_waitcnt lgkmcnt(0)
	v_bcnt_u32_b32 v3, v3, v35
	ds_store_b32 v37, v3 offset:64
.LBB15_57:
	s_or_b32 exec_lo, exec_lo, s24
	v_xor_b32_e32 v34, 0x7fffffff, v34
	; wave barrier
	s_delay_alu instid0(VALU_DEP_1) | instskip(NEXT) | instid1(VALU_DEP_1)
	v_lshrrev_b32_e32 v3, s64, v34
	v_and_b32_e32 v3, s51, v3
	s_delay_alu instid0(VALU_DEP_1)
	v_and_b32_e32 v39, 1, v3
	v_lshlrev_b32_e32 v40, 30, v3
	v_lshlrev_b32_e32 v41, 29, v3
	;; [unrolled: 1-line block ×4, first 2 shown]
	v_add_co_u32 v39, s24, v39, -1
	s_delay_alu instid0(VALU_DEP_1)
	v_cndmask_b32_e64 v45, 0, 1, s24
	v_not_b32_e32 v52, v40
	v_cmp_gt_i32_e64 s25, 0, v40
	v_not_b32_e32 v40, v41
	v_lshlrev_b32_e32 v49, 26, v3
	v_cmp_ne_u32_e64 s24, 0, v45
	v_ashrrev_i32_e32 v52, 31, v52
	v_lshlrev_b32_e32 v50, 25, v3
	v_ashrrev_i32_e32 v40, 31, v40
	v_lshlrev_b32_e32 v45, 24, v3
	v_xor_b32_e32 v39, s24, v39
	v_cmp_gt_i32_e64 s24, 0, v41
	v_not_b32_e32 v41, v44
	v_xor_b32_e32 v52, s25, v52
	v_cmp_gt_i32_e64 s25, 0, v44
	v_and_b32_e32 v39, exec_lo, v39
	v_not_b32_e32 v44, v46
	v_ashrrev_i32_e32 v41, 31, v41
	v_xor_b32_e32 v40, s24, v40
	v_cmp_gt_i32_e64 s24, 0, v46
	v_and_b32_e32 v39, v39, v52
	v_not_b32_e32 v46, v49
	v_ashrrev_i32_e32 v44, 31, v44
	v_xor_b32_e32 v41, s25, v41
	v_cmp_gt_i32_e64 s25, 0, v49
	v_and_b32_e32 v39, v39, v40
	;; [unrolled: 5-line block ×3, first 2 shown]
	v_not_b32_e32 v41, v45
	v_ashrrev_i32_e32 v40, 31, v40
	v_xor_b32_e32 v46, s25, v46
	v_lshl_add_u32 v3, v3, 4, v3
	v_and_b32_e32 v39, v39, v44
	v_cmp_gt_i32_e64 s25, 0, v45
	v_ashrrev_i32_e32 v44, 31, v41
	v_xor_b32_e32 v40, s24, v40
	v_add_lshl_u32 v41, v2, v3, 2
	v_and_b32_e32 v39, v39, v46
	s_delay_alu instid0(VALU_DEP_4) | instskip(NEXT) | instid1(VALU_DEP_2)
	v_xor_b32_e32 v3, s25, v44
	v_and_b32_e32 v40, v39, v40
	ds_load_b32 v39, v41 offset:64
	; wave barrier
	v_and_b32_e32 v3, v40, v3
	s_delay_alu instid0(VALU_DEP_1) | instskip(SKIP_1) | instid1(VALU_DEP_2)
	v_mbcnt_lo_u32_b32 v40, v3, 0
	v_cmp_ne_u32_e64 s25, 0, v3
	v_cmp_eq_u32_e64 s24, 0, v40
	s_delay_alu instid0(VALU_DEP_1) | instskip(NEXT) | instid1(SALU_CYCLE_1)
	s_and_b32 s25, s25, s24
	s_and_saveexec_b32 s24, s25
	s_cbranch_execz .LBB15_59
; %bb.58:
	s_waitcnt lgkmcnt(0)
	v_bcnt_u32_b32 v3, v3, v39
	ds_store_b32 v41, v3 offset:64
.LBB15_59:
	s_or_b32 exec_lo, exec_lo, s24
	v_xor_b32_e32 v38, 0x7fffffff, v38
	; wave barrier
	s_delay_alu instid0(VALU_DEP_1) | instskip(NEXT) | instid1(VALU_DEP_1)
	v_lshrrev_b32_e32 v3, s64, v38
	v_and_b32_e32 v3, s51, v3
	s_delay_alu instid0(VALU_DEP_1)
	v_and_b32_e32 v44, 1, v3
	v_lshlrev_b32_e32 v45, 30, v3
	v_lshlrev_b32_e32 v46, 29, v3
	;; [unrolled: 1-line block ×4, first 2 shown]
	v_add_co_u32 v44, s24, v44, -1
	s_delay_alu instid0(VALU_DEP_1)
	v_cndmask_b32_e64 v50, 0, 1, s24
	v_not_b32_e32 v57, v45
	v_cmp_gt_i32_e64 s25, 0, v45
	v_not_b32_e32 v45, v46
	v_lshlrev_b32_e32 v54, 26, v3
	v_cmp_ne_u32_e64 s24, 0, v50
	v_ashrrev_i32_e32 v57, 31, v57
	v_lshlrev_b32_e32 v55, 25, v3
	v_ashrrev_i32_e32 v45, 31, v45
	v_lshlrev_b32_e32 v50, 24, v3
	v_xor_b32_e32 v44, s24, v44
	v_cmp_gt_i32_e64 s24, 0, v46
	v_not_b32_e32 v46, v49
	v_xor_b32_e32 v57, s25, v57
	v_cmp_gt_i32_e64 s25, 0, v49
	v_and_b32_e32 v44, exec_lo, v44
	v_not_b32_e32 v49, v52
	v_ashrrev_i32_e32 v46, 31, v46
	v_xor_b32_e32 v45, s24, v45
	v_cmp_gt_i32_e64 s24, 0, v52
	v_and_b32_e32 v44, v44, v57
	v_not_b32_e32 v52, v54
	v_ashrrev_i32_e32 v49, 31, v49
	v_xor_b32_e32 v46, s25, v46
	v_cmp_gt_i32_e64 s25, 0, v54
	v_and_b32_e32 v44, v44, v45
	v_not_b32_e32 v45, v55
	v_ashrrev_i32_e32 v52, 31, v52
	v_xor_b32_e32 v49, s24, v49
	v_cmp_gt_i32_e64 s24, 0, v55
	v_and_b32_e32 v44, v44, v46
	v_not_b32_e32 v46, v50
	v_ashrrev_i32_e32 v45, 31, v45
	v_xor_b32_e32 v52, s25, v52
	v_lshl_add_u32 v3, v3, 4, v3
	v_and_b32_e32 v44, v44, v49
	v_cmp_gt_i32_e64 s25, 0, v50
	v_ashrrev_i32_e32 v49, 31, v46
	v_xor_b32_e32 v45, s24, v45
	v_add_lshl_u32 v46, v2, v3, 2
	v_and_b32_e32 v44, v44, v52
	s_delay_alu instid0(VALU_DEP_4) | instskip(NEXT) | instid1(VALU_DEP_2)
	v_xor_b32_e32 v3, s25, v49
	v_and_b32_e32 v45, v44, v45
	ds_load_b32 v44, v46 offset:64
	; wave barrier
	v_and_b32_e32 v3, v45, v3
	s_delay_alu instid0(VALU_DEP_1) | instskip(SKIP_1) | instid1(VALU_DEP_2)
	v_mbcnt_lo_u32_b32 v45, v3, 0
	v_cmp_ne_u32_e64 s25, 0, v3
	v_cmp_eq_u32_e64 s24, 0, v45
	s_delay_alu instid0(VALU_DEP_1) | instskip(NEXT) | instid1(SALU_CYCLE_1)
	s_and_b32 s25, s25, s24
	s_and_saveexec_b32 s24, s25
	s_cbranch_execz .LBB15_61
; %bb.60:
	s_waitcnt lgkmcnt(0)
	v_bcnt_u32_b32 v3, v3, v44
	ds_store_b32 v46, v3 offset:64
.LBB15_61:
	s_or_b32 exec_lo, exec_lo, s24
	v_xor_b32_e32 v43, 0x7fffffff, v43
	; wave barrier
	s_delay_alu instid0(VALU_DEP_1) | instskip(NEXT) | instid1(VALU_DEP_1)
	v_lshrrev_b32_e32 v3, s64, v43
	v_and_b32_e32 v3, s51, v3
	s_delay_alu instid0(VALU_DEP_1)
	v_and_b32_e32 v49, 1, v3
	v_lshlrev_b32_e32 v50, 30, v3
	v_lshlrev_b32_e32 v52, 29, v3
	;; [unrolled: 1-line block ×4, first 2 shown]
	v_add_co_u32 v49, s24, v49, -1
	s_delay_alu instid0(VALU_DEP_1)
	v_cndmask_b32_e64 v55, 0, 1, s24
	v_not_b32_e32 v61, v50
	v_cmp_gt_i32_e64 s25, 0, v50
	v_not_b32_e32 v50, v52
	v_lshlrev_b32_e32 v59, 26, v3
	v_cmp_ne_u32_e64 s24, 0, v55
	v_ashrrev_i32_e32 v61, 31, v61
	v_lshlrev_b32_e32 v60, 25, v3
	v_ashrrev_i32_e32 v50, 31, v50
	v_lshlrev_b32_e32 v55, 24, v3
	v_xor_b32_e32 v49, s24, v49
	v_cmp_gt_i32_e64 s24, 0, v52
	v_not_b32_e32 v52, v54
	v_xor_b32_e32 v61, s25, v61
	v_cmp_gt_i32_e64 s25, 0, v54
	v_and_b32_e32 v49, exec_lo, v49
	v_not_b32_e32 v54, v57
	v_ashrrev_i32_e32 v52, 31, v52
	v_xor_b32_e32 v50, s24, v50
	v_cmp_gt_i32_e64 s24, 0, v57
	v_and_b32_e32 v49, v49, v61
	v_not_b32_e32 v57, v59
	v_ashrrev_i32_e32 v54, 31, v54
	v_xor_b32_e32 v52, s25, v52
	v_cmp_gt_i32_e64 s25, 0, v59
	v_and_b32_e32 v49, v49, v50
	v_not_b32_e32 v50, v60
	v_ashrrev_i32_e32 v57, 31, v57
	v_xor_b32_e32 v54, s24, v54
	v_cmp_gt_i32_e64 s24, 0, v60
	v_and_b32_e32 v49, v49, v52
	v_not_b32_e32 v52, v55
	v_ashrrev_i32_e32 v50, 31, v50
	v_xor_b32_e32 v57, s25, v57
	v_lshl_add_u32 v3, v3, 4, v3
	v_and_b32_e32 v49, v49, v54
	v_cmp_gt_i32_e64 s25, 0, v55
	v_ashrrev_i32_e32 v54, 31, v52
	v_xor_b32_e32 v50, s24, v50
	v_add_lshl_u32 v52, v2, v3, 2
	v_and_b32_e32 v49, v49, v57
	s_delay_alu instid0(VALU_DEP_4) | instskip(NEXT) | instid1(VALU_DEP_2)
	v_xor_b32_e32 v3, s25, v54
	v_and_b32_e32 v50, v49, v50
	ds_load_b32 v49, v52 offset:64
	; wave barrier
	v_and_b32_e32 v3, v50, v3
	s_delay_alu instid0(VALU_DEP_1) | instskip(SKIP_1) | instid1(VALU_DEP_2)
	v_mbcnt_lo_u32_b32 v50, v3, 0
	v_cmp_ne_u32_e64 s25, 0, v3
	v_cmp_eq_u32_e64 s24, 0, v50
	s_delay_alu instid0(VALU_DEP_1) | instskip(NEXT) | instid1(SALU_CYCLE_1)
	s_and_b32 s25, s25, s24
	s_and_saveexec_b32 s24, s25
	s_cbranch_execz .LBB15_63
; %bb.62:
	s_waitcnt lgkmcnt(0)
	v_bcnt_u32_b32 v3, v3, v49
	ds_store_b32 v52, v3 offset:64
.LBB15_63:
	s_or_b32 exec_lo, exec_lo, s24
	v_xor_b32_e32 v48, 0x7fffffff, v48
	; wave barrier
	s_delay_alu instid0(VALU_DEP_1) | instskip(NEXT) | instid1(VALU_DEP_1)
	v_lshrrev_b32_e32 v3, s64, v48
	v_and_b32_e32 v3, s51, v3
	s_delay_alu instid0(VALU_DEP_1)
	v_and_b32_e32 v54, 1, v3
	v_lshlrev_b32_e32 v55, 30, v3
	v_lshlrev_b32_e32 v57, 29, v3
	;; [unrolled: 1-line block ×4, first 2 shown]
	v_add_co_u32 v54, s24, v54, -1
	s_delay_alu instid0(VALU_DEP_1)
	v_cndmask_b32_e64 v60, 0, 1, s24
	v_not_b32_e32 v64, v55
	v_cmp_gt_i32_e64 s25, 0, v55
	v_not_b32_e32 v55, v57
	v_lshlrev_b32_e32 v62, 26, v3
	v_cmp_ne_u32_e64 s24, 0, v60
	v_ashrrev_i32_e32 v64, 31, v64
	v_lshlrev_b32_e32 v63, 25, v3
	v_ashrrev_i32_e32 v55, 31, v55
	v_lshlrev_b32_e32 v60, 24, v3
	v_xor_b32_e32 v54, s24, v54
	v_cmp_gt_i32_e64 s24, 0, v57
	v_not_b32_e32 v57, v59
	v_xor_b32_e32 v64, s25, v64
	v_cmp_gt_i32_e64 s25, 0, v59
	v_and_b32_e32 v54, exec_lo, v54
	v_not_b32_e32 v59, v61
	v_ashrrev_i32_e32 v57, 31, v57
	v_xor_b32_e32 v55, s24, v55
	v_cmp_gt_i32_e64 s24, 0, v61
	v_and_b32_e32 v54, v54, v64
	v_not_b32_e32 v61, v62
	v_ashrrev_i32_e32 v59, 31, v59
	v_xor_b32_e32 v57, s25, v57
	v_cmp_gt_i32_e64 s25, 0, v62
	v_and_b32_e32 v54, v54, v55
	;; [unrolled: 5-line block ×3, first 2 shown]
	v_not_b32_e32 v57, v60
	v_ashrrev_i32_e32 v55, 31, v55
	v_xor_b32_e32 v61, s25, v61
	v_lshl_add_u32 v3, v3, 4, v3
	v_and_b32_e32 v54, v54, v59
	v_cmp_gt_i32_e64 s25, 0, v60
	v_ashrrev_i32_e32 v59, 31, v57
	v_xor_b32_e32 v55, s24, v55
	v_add_lshl_u32 v57, v2, v3, 2
	v_and_b32_e32 v54, v54, v61
	s_delay_alu instid0(VALU_DEP_4) | instskip(NEXT) | instid1(VALU_DEP_2)
	v_xor_b32_e32 v3, s25, v59
	v_and_b32_e32 v55, v54, v55
	ds_load_b32 v54, v57 offset:64
	; wave barrier
	v_and_b32_e32 v3, v55, v3
	s_delay_alu instid0(VALU_DEP_1) | instskip(SKIP_1) | instid1(VALU_DEP_2)
	v_mbcnt_lo_u32_b32 v55, v3, 0
	v_cmp_ne_u32_e64 s25, 0, v3
	v_cmp_eq_u32_e64 s24, 0, v55
	s_delay_alu instid0(VALU_DEP_1) | instskip(NEXT) | instid1(SALU_CYCLE_1)
	s_and_b32 s25, s25, s24
	s_and_saveexec_b32 s24, s25
	s_cbranch_execz .LBB15_65
; %bb.64:
	s_waitcnt lgkmcnt(0)
	v_bcnt_u32_b32 v3, v3, v54
	ds_store_b32 v57, v3 offset:64
.LBB15_65:
	s_or_b32 exec_lo, exec_lo, s24
	v_xor_b32_e32 v53, 0x7fffffff, v53
	; wave barrier
	s_delay_alu instid0(VALU_DEP_1) | instskip(NEXT) | instid1(VALU_DEP_1)
	v_lshrrev_b32_e32 v3, s64, v53
	v_and_b32_e32 v3, s51, v3
	s_delay_alu instid0(VALU_DEP_1)
	v_and_b32_e32 v59, 1, v3
	v_lshlrev_b32_e32 v60, 30, v3
	v_lshlrev_b32_e32 v61, 29, v3
	;; [unrolled: 1-line block ×4, first 2 shown]
	v_add_co_u32 v59, s24, v59, -1
	s_delay_alu instid0(VALU_DEP_1)
	v_cndmask_b32_e64 v63, 0, 1, s24
	v_not_b32_e32 v67, v60
	v_cmp_gt_i32_e64 s25, 0, v60
	v_not_b32_e32 v60, v61
	v_lshlrev_b32_e32 v65, 26, v3
	v_cmp_ne_u32_e64 s24, 0, v63
	v_ashrrev_i32_e32 v67, 31, v67
	v_lshlrev_b32_e32 v66, 25, v3
	v_ashrrev_i32_e32 v60, 31, v60
	v_lshlrev_b32_e32 v63, 24, v3
	v_xor_b32_e32 v59, s24, v59
	v_cmp_gt_i32_e64 s24, 0, v61
	v_not_b32_e32 v61, v62
	v_xor_b32_e32 v67, s25, v67
	v_cmp_gt_i32_e64 s25, 0, v62
	v_and_b32_e32 v59, exec_lo, v59
	v_not_b32_e32 v62, v64
	v_ashrrev_i32_e32 v61, 31, v61
	v_xor_b32_e32 v60, s24, v60
	v_cmp_gt_i32_e64 s24, 0, v64
	v_and_b32_e32 v59, v59, v67
	v_not_b32_e32 v64, v65
	v_ashrrev_i32_e32 v62, 31, v62
	v_xor_b32_e32 v61, s25, v61
	v_cmp_gt_i32_e64 s25, 0, v65
	v_and_b32_e32 v59, v59, v60
	;; [unrolled: 5-line block ×3, first 2 shown]
	v_not_b32_e32 v61, v63
	v_ashrrev_i32_e32 v60, 31, v60
	v_xor_b32_e32 v64, s25, v64
	v_lshl_add_u32 v3, v3, 4, v3
	v_and_b32_e32 v59, v59, v62
	v_cmp_gt_i32_e64 s25, 0, v63
	v_ashrrev_i32_e32 v62, 31, v61
	v_xor_b32_e32 v60, s24, v60
	v_add_lshl_u32 v61, v2, v3, 2
	v_and_b32_e32 v59, v59, v64
	s_delay_alu instid0(VALU_DEP_4) | instskip(NEXT) | instid1(VALU_DEP_2)
	v_xor_b32_e32 v3, s25, v62
	v_and_b32_e32 v60, v59, v60
	ds_load_b32 v59, v61 offset:64
	; wave barrier
	v_and_b32_e32 v3, v60, v3
	s_delay_alu instid0(VALU_DEP_1) | instskip(SKIP_1) | instid1(VALU_DEP_2)
	v_mbcnt_lo_u32_b32 v60, v3, 0
	v_cmp_ne_u32_e64 s25, 0, v3
	v_cmp_eq_u32_e64 s24, 0, v60
	s_delay_alu instid0(VALU_DEP_1) | instskip(NEXT) | instid1(SALU_CYCLE_1)
	s_and_b32 s25, s25, s24
	s_and_saveexec_b32 s24, s25
	s_cbranch_execz .LBB15_67
; %bb.66:
	s_waitcnt lgkmcnt(0)
	v_bcnt_u32_b32 v3, v3, v59
	ds_store_b32 v61, v3 offset:64
.LBB15_67:
	s_or_b32 exec_lo, exec_lo, s24
	v_xor_b32_e32 v58, 0x7fffffff, v58
	; wave barrier
	s_delay_alu instid0(VALU_DEP_1) | instskip(NEXT) | instid1(VALU_DEP_1)
	v_lshrrev_b32_e32 v3, s64, v58
	v_and_b32_e32 v3, s51, v3
	s_delay_alu instid0(VALU_DEP_1)
	v_and_b32_e32 v62, 1, v3
	v_lshlrev_b32_e32 v63, 30, v3
	v_lshlrev_b32_e32 v64, 29, v3
	;; [unrolled: 1-line block ×4, first 2 shown]
	v_add_co_u32 v62, s24, v62, -1
	s_delay_alu instid0(VALU_DEP_1)
	v_cndmask_b32_e64 v66, 0, 1, s24
	v_not_b32_e32 v70, v63
	v_cmp_gt_i32_e64 s25, 0, v63
	v_not_b32_e32 v63, v64
	v_lshlrev_b32_e32 v68, 26, v3
	v_cmp_ne_u32_e64 s24, 0, v66
	v_ashrrev_i32_e32 v70, 31, v70
	v_lshlrev_b32_e32 v69, 25, v3
	v_ashrrev_i32_e32 v63, 31, v63
	v_lshlrev_b32_e32 v66, 24, v3
	v_xor_b32_e32 v62, s24, v62
	v_cmp_gt_i32_e64 s24, 0, v64
	v_not_b32_e32 v64, v65
	v_xor_b32_e32 v70, s25, v70
	v_cmp_gt_i32_e64 s25, 0, v65
	v_and_b32_e32 v62, exec_lo, v62
	v_not_b32_e32 v65, v67
	v_ashrrev_i32_e32 v64, 31, v64
	v_xor_b32_e32 v63, s24, v63
	v_cmp_gt_i32_e64 s24, 0, v67
	v_and_b32_e32 v62, v62, v70
	v_not_b32_e32 v67, v68
	v_ashrrev_i32_e32 v65, 31, v65
	v_xor_b32_e32 v64, s25, v64
	v_cmp_gt_i32_e64 s25, 0, v68
	v_and_b32_e32 v62, v62, v63
	v_not_b32_e32 v63, v69
	v_ashrrev_i32_e32 v67, 31, v67
	v_xor_b32_e32 v65, s24, v65
	v_cmp_gt_i32_e64 s24, 0, v69
	v_and_b32_e32 v62, v62, v64
	v_not_b32_e32 v64, v66
	v_ashrrev_i32_e32 v63, 31, v63
	v_xor_b32_e32 v67, s25, v67
	v_lshl_add_u32 v3, v3, 4, v3
	v_and_b32_e32 v62, v62, v65
	v_cmp_gt_i32_e64 s25, 0, v66
	v_ashrrev_i32_e32 v65, 31, v64
	v_xor_b32_e32 v63, s24, v63
	v_add_lshl_u32 v64, v2, v3, 2
	v_and_b32_e32 v62, v62, v67
	s_delay_alu instid0(VALU_DEP_4) | instskip(NEXT) | instid1(VALU_DEP_2)
	v_xor_b32_e32 v3, s25, v65
	v_and_b32_e32 v63, v62, v63
	ds_load_b32 v62, v64 offset:64
	; wave barrier
	v_and_b32_e32 v3, v63, v3
	s_delay_alu instid0(VALU_DEP_1) | instskip(SKIP_1) | instid1(VALU_DEP_2)
	v_mbcnt_lo_u32_b32 v63, v3, 0
	v_cmp_ne_u32_e64 s25, 0, v3
	v_cmp_eq_u32_e64 s24, 0, v63
	s_delay_alu instid0(VALU_DEP_1) | instskip(NEXT) | instid1(SALU_CYCLE_1)
	s_and_b32 s25, s25, s24
	s_and_saveexec_b32 s24, s25
	s_cbranch_execz .LBB15_69
; %bb.68:
	s_waitcnt lgkmcnt(0)
	v_bcnt_u32_b32 v3, v3, v62
	ds_store_b32 v64, v3 offset:64
.LBB15_69:
	s_or_b32 exec_lo, exec_lo, s24
	v_xor_b32_e32 v56, 0x7fffffff, v56
	; wave barrier
	s_delay_alu instid0(VALU_DEP_1) | instskip(NEXT) | instid1(VALU_DEP_1)
	v_lshrrev_b32_e32 v3, s64, v56
	v_and_b32_e32 v3, s51, v3
	s_delay_alu instid0(VALU_DEP_1)
	v_and_b32_e32 v65, 1, v3
	v_lshlrev_b32_e32 v66, 30, v3
	v_lshlrev_b32_e32 v67, 29, v3
	;; [unrolled: 1-line block ×4, first 2 shown]
	v_add_co_u32 v65, s24, v65, -1
	s_delay_alu instid0(VALU_DEP_1)
	v_cndmask_b32_e64 v69, 0, 1, s24
	v_not_b32_e32 v73, v66
	v_cmp_gt_i32_e64 s25, 0, v66
	v_not_b32_e32 v66, v67
	v_lshlrev_b32_e32 v71, 26, v3
	v_cmp_ne_u32_e64 s24, 0, v69
	v_ashrrev_i32_e32 v73, 31, v73
	v_lshlrev_b32_e32 v72, 25, v3
	v_ashrrev_i32_e32 v66, 31, v66
	v_lshlrev_b32_e32 v69, 24, v3
	v_xor_b32_e32 v65, s24, v65
	v_cmp_gt_i32_e64 s24, 0, v67
	v_not_b32_e32 v67, v68
	v_xor_b32_e32 v73, s25, v73
	v_cmp_gt_i32_e64 s25, 0, v68
	v_and_b32_e32 v65, exec_lo, v65
	v_not_b32_e32 v68, v70
	v_ashrrev_i32_e32 v67, 31, v67
	v_xor_b32_e32 v66, s24, v66
	v_cmp_gt_i32_e64 s24, 0, v70
	v_and_b32_e32 v65, v65, v73
	v_not_b32_e32 v70, v71
	v_ashrrev_i32_e32 v68, 31, v68
	v_xor_b32_e32 v67, s25, v67
	v_cmp_gt_i32_e64 s25, 0, v71
	v_and_b32_e32 v65, v65, v66
	;; [unrolled: 5-line block ×3, first 2 shown]
	v_not_b32_e32 v67, v69
	v_ashrrev_i32_e32 v66, 31, v66
	v_xor_b32_e32 v70, s25, v70
	v_lshl_add_u32 v3, v3, 4, v3
	v_and_b32_e32 v65, v65, v68
	v_cmp_gt_i32_e64 s25, 0, v69
	v_ashrrev_i32_e32 v68, 31, v67
	v_xor_b32_e32 v66, s24, v66
	v_add_lshl_u32 v67, v2, v3, 2
	v_and_b32_e32 v65, v65, v70
	s_delay_alu instid0(VALU_DEP_4) | instskip(NEXT) | instid1(VALU_DEP_2)
	v_xor_b32_e32 v3, s25, v68
	v_and_b32_e32 v66, v65, v66
	ds_load_b32 v65, v67 offset:64
	; wave barrier
	v_and_b32_e32 v3, v66, v3
	s_delay_alu instid0(VALU_DEP_1) | instskip(SKIP_1) | instid1(VALU_DEP_2)
	v_mbcnt_lo_u32_b32 v66, v3, 0
	v_cmp_ne_u32_e64 s25, 0, v3
	v_cmp_eq_u32_e64 s24, 0, v66
	s_delay_alu instid0(VALU_DEP_1) | instskip(NEXT) | instid1(SALU_CYCLE_1)
	s_and_b32 s25, s25, s24
	s_and_saveexec_b32 s24, s25
	s_cbranch_execz .LBB15_71
; %bb.70:
	s_waitcnt lgkmcnt(0)
	v_bcnt_u32_b32 v3, v3, v65
	ds_store_b32 v67, v3 offset:64
.LBB15_71:
	s_or_b32 exec_lo, exec_lo, s24
	v_xor_b32_e32 v51, 0x7fffffff, v51
	; wave barrier
	s_delay_alu instid0(VALU_DEP_1) | instskip(NEXT) | instid1(VALU_DEP_1)
	v_lshrrev_b32_e32 v3, s64, v51
	v_and_b32_e32 v3, s51, v3
	s_delay_alu instid0(VALU_DEP_1)
	v_and_b32_e32 v68, 1, v3
	v_lshlrev_b32_e32 v69, 30, v3
	v_lshlrev_b32_e32 v70, 29, v3
	;; [unrolled: 1-line block ×4, first 2 shown]
	v_add_co_u32 v68, s24, v68, -1
	s_delay_alu instid0(VALU_DEP_1)
	v_cndmask_b32_e64 v72, 0, 1, s24
	v_not_b32_e32 v76, v69
	v_cmp_gt_i32_e64 s25, 0, v69
	v_not_b32_e32 v69, v70
	v_lshlrev_b32_e32 v74, 26, v3
	v_cmp_ne_u32_e64 s24, 0, v72
	v_ashrrev_i32_e32 v76, 31, v76
	v_lshlrev_b32_e32 v75, 25, v3
	v_ashrrev_i32_e32 v69, 31, v69
	v_lshlrev_b32_e32 v72, 24, v3
	v_xor_b32_e32 v68, s24, v68
	v_cmp_gt_i32_e64 s24, 0, v70
	v_not_b32_e32 v70, v71
	v_xor_b32_e32 v76, s25, v76
	v_cmp_gt_i32_e64 s25, 0, v71
	v_and_b32_e32 v68, exec_lo, v68
	v_not_b32_e32 v71, v73
	v_ashrrev_i32_e32 v70, 31, v70
	v_xor_b32_e32 v69, s24, v69
	v_cmp_gt_i32_e64 s24, 0, v73
	v_and_b32_e32 v68, v68, v76
	v_not_b32_e32 v73, v74
	v_ashrrev_i32_e32 v71, 31, v71
	v_xor_b32_e32 v70, s25, v70
	v_cmp_gt_i32_e64 s25, 0, v74
	v_and_b32_e32 v68, v68, v69
	;; [unrolled: 5-line block ×3, first 2 shown]
	v_not_b32_e32 v70, v72
	v_ashrrev_i32_e32 v69, 31, v69
	v_xor_b32_e32 v73, s25, v73
	v_lshl_add_u32 v3, v3, 4, v3
	v_and_b32_e32 v68, v68, v71
	v_cmp_gt_i32_e64 s25, 0, v72
	v_ashrrev_i32_e32 v71, 31, v70
	v_xor_b32_e32 v69, s24, v69
	v_add_lshl_u32 v70, v2, v3, 2
	v_and_b32_e32 v68, v68, v73
	s_delay_alu instid0(VALU_DEP_4) | instskip(NEXT) | instid1(VALU_DEP_2)
	v_xor_b32_e32 v3, s25, v71
	v_and_b32_e32 v69, v68, v69
	ds_load_b32 v68, v70 offset:64
	; wave barrier
	v_and_b32_e32 v3, v69, v3
	s_delay_alu instid0(VALU_DEP_1) | instskip(SKIP_1) | instid1(VALU_DEP_2)
	v_mbcnt_lo_u32_b32 v69, v3, 0
	v_cmp_ne_u32_e64 s25, 0, v3
	v_cmp_eq_u32_e64 s24, 0, v69
	s_delay_alu instid0(VALU_DEP_1) | instskip(NEXT) | instid1(SALU_CYCLE_1)
	s_and_b32 s25, s25, s24
	s_and_saveexec_b32 s24, s25
	s_cbranch_execz .LBB15_73
; %bb.72:
	s_waitcnt lgkmcnt(0)
	v_bcnt_u32_b32 v3, v3, v68
	ds_store_b32 v70, v3 offset:64
.LBB15_73:
	s_or_b32 exec_lo, exec_lo, s24
	v_xor_b32_e32 v47, 0x7fffffff, v47
	; wave barrier
	s_delay_alu instid0(VALU_DEP_1) | instskip(NEXT) | instid1(VALU_DEP_1)
	v_lshrrev_b32_e32 v3, s64, v47
	v_and_b32_e32 v3, s51, v3
	s_delay_alu instid0(VALU_DEP_1)
	v_and_b32_e32 v71, 1, v3
	v_lshlrev_b32_e32 v72, 30, v3
	v_lshlrev_b32_e32 v73, 29, v3
	;; [unrolled: 1-line block ×4, first 2 shown]
	v_add_co_u32 v71, s24, v71, -1
	s_delay_alu instid0(VALU_DEP_1)
	v_cndmask_b32_e64 v75, 0, 1, s24
	v_not_b32_e32 v79, v72
	v_cmp_gt_i32_e64 s25, 0, v72
	v_not_b32_e32 v72, v73
	v_lshlrev_b32_e32 v77, 26, v3
	v_cmp_ne_u32_e64 s24, 0, v75
	v_ashrrev_i32_e32 v79, 31, v79
	v_lshlrev_b32_e32 v78, 25, v3
	v_ashrrev_i32_e32 v72, 31, v72
	v_lshlrev_b32_e32 v75, 24, v3
	v_xor_b32_e32 v71, s24, v71
	v_cmp_gt_i32_e64 s24, 0, v73
	v_not_b32_e32 v73, v74
	v_xor_b32_e32 v79, s25, v79
	v_cmp_gt_i32_e64 s25, 0, v74
	v_and_b32_e32 v71, exec_lo, v71
	v_not_b32_e32 v74, v76
	v_ashrrev_i32_e32 v73, 31, v73
	v_xor_b32_e32 v72, s24, v72
	v_cmp_gt_i32_e64 s24, 0, v76
	v_and_b32_e32 v71, v71, v79
	v_not_b32_e32 v76, v77
	v_ashrrev_i32_e32 v74, 31, v74
	v_xor_b32_e32 v73, s25, v73
	v_cmp_gt_i32_e64 s25, 0, v77
	v_and_b32_e32 v71, v71, v72
	v_not_b32_e32 v72, v78
	v_ashrrev_i32_e32 v76, 31, v76
	v_xor_b32_e32 v74, s24, v74
	v_cmp_gt_i32_e64 s24, 0, v78
	v_and_b32_e32 v71, v71, v73
	v_not_b32_e32 v73, v75
	v_ashrrev_i32_e32 v72, 31, v72
	v_xor_b32_e32 v76, s25, v76
	v_lshl_add_u32 v3, v3, 4, v3
	v_and_b32_e32 v71, v71, v74
	v_cmp_gt_i32_e64 s25, 0, v75
	v_ashrrev_i32_e32 v73, 31, v73
	v_xor_b32_e32 v72, s24, v72
	v_add_lshl_u32 v74, v2, v3, 2
	v_and_b32_e32 v71, v71, v76
	s_delay_alu instid0(VALU_DEP_4) | instskip(NEXT) | instid1(VALU_DEP_2)
	v_xor_b32_e32 v3, s25, v73
	v_and_b32_e32 v71, v71, v72
	ds_load_b32 v72, v74 offset:64
	; wave barrier
	v_and_b32_e32 v3, v71, v3
	s_delay_alu instid0(VALU_DEP_1) | instskip(SKIP_1) | instid1(VALU_DEP_2)
	v_mbcnt_lo_u32_b32 v73, v3, 0
	v_cmp_ne_u32_e64 s25, 0, v3
	v_cmp_eq_u32_e64 s24, 0, v73
	s_delay_alu instid0(VALU_DEP_1) | instskip(NEXT) | instid1(SALU_CYCLE_1)
	s_and_b32 s25, s25, s24
	s_and_saveexec_b32 s24, s25
	s_cbranch_execz .LBB15_75
; %bb.74:
	s_waitcnt lgkmcnt(0)
	v_bcnt_u32_b32 v3, v3, v72
	ds_store_b32 v74, v3 offset:64
.LBB15_75:
	s_or_b32 exec_lo, exec_lo, s24
	v_xor_b32_e32 v71, 0x7fffffff, v42
	; wave barrier
	s_delay_alu instid0(VALU_DEP_1) | instskip(NEXT) | instid1(VALU_DEP_1)
	v_lshrrev_b32_e32 v3, s64, v71
	v_and_b32_e32 v3, s51, v3
	s_delay_alu instid0(VALU_DEP_1)
	v_and_b32_e32 v42, 1, v3
	v_lshlrev_b32_e32 v75, 30, v3
	v_lshlrev_b32_e32 v76, 29, v3
	v_lshlrev_b32_e32 v77, 28, v3
	v_lshlrev_b32_e32 v79, 27, v3
	v_add_co_u32 v42, s24, v42, -1
	s_delay_alu instid0(VALU_DEP_1)
	v_cndmask_b32_e64 v78, 0, 1, s24
	v_not_b32_e32 v82, v75
	v_cmp_gt_i32_e64 s25, 0, v75
	v_not_b32_e32 v75, v76
	v_lshlrev_b32_e32 v80, 26, v3
	v_cmp_ne_u32_e64 s24, 0, v78
	v_ashrrev_i32_e32 v82, 31, v82
	v_lshlrev_b32_e32 v81, 25, v3
	v_ashrrev_i32_e32 v75, 31, v75
	v_lshlrev_b32_e32 v78, 24, v3
	v_xor_b32_e32 v42, s24, v42
	v_cmp_gt_i32_e64 s24, 0, v76
	v_not_b32_e32 v76, v77
	v_xor_b32_e32 v82, s25, v82
	v_cmp_gt_i32_e64 s25, 0, v77
	v_and_b32_e32 v42, exec_lo, v42
	v_not_b32_e32 v77, v79
	v_ashrrev_i32_e32 v76, 31, v76
	v_xor_b32_e32 v75, s24, v75
	v_cmp_gt_i32_e64 s24, 0, v79
	v_and_b32_e32 v42, v42, v82
	v_not_b32_e32 v79, v80
	v_ashrrev_i32_e32 v77, 31, v77
	v_xor_b32_e32 v76, s25, v76
	v_cmp_gt_i32_e64 s25, 0, v80
	v_and_b32_e32 v42, v42, v75
	;; [unrolled: 5-line block ×3, first 2 shown]
	v_not_b32_e32 v76, v78
	v_ashrrev_i32_e32 v75, 31, v75
	v_xor_b32_e32 v79, s25, v79
	v_lshl_add_u32 v3, v3, 4, v3
	v_and_b32_e32 v42, v42, v77
	v_cmp_gt_i32_e64 s25, 0, v78
	v_ashrrev_i32_e32 v76, 31, v76
	v_xor_b32_e32 v75, s24, v75
	v_add_lshl_u32 v77, v2, v3, 2
	v_and_b32_e32 v42, v42, v79
	s_delay_alu instid0(VALU_DEP_4) | instskip(NEXT) | instid1(VALU_DEP_2)
	v_xor_b32_e32 v3, s25, v76
	v_and_b32_e32 v75, v42, v75
	ds_load_b32 v42, v77 offset:64
	; wave barrier
	v_and_b32_e32 v3, v75, v3
	s_delay_alu instid0(VALU_DEP_1) | instskip(SKIP_1) | instid1(VALU_DEP_2)
	v_mbcnt_lo_u32_b32 v76, v3, 0
	v_cmp_ne_u32_e64 s25, 0, v3
	v_cmp_eq_u32_e64 s24, 0, v76
	s_delay_alu instid0(VALU_DEP_1) | instskip(NEXT) | instid1(SALU_CYCLE_1)
	s_and_b32 s25, s25, s24
	s_and_saveexec_b32 s24, s25
	s_cbranch_execz .LBB15_77
; %bb.76:
	s_waitcnt lgkmcnt(0)
	v_bcnt_u32_b32 v3, v3, v42
	ds_store_b32 v77, v3 offset:64
.LBB15_77:
	s_or_b32 exec_lo, exec_lo, s24
	v_xor_b32_e32 v75, 0x7fffffff, v9
	; wave barrier
	s_delay_alu instid0(VALU_DEP_1) | instskip(NEXT) | instid1(VALU_DEP_1)
	v_lshrrev_b32_e32 v3, s64, v75
	v_and_b32_e32 v3, s51, v3
	s_delay_alu instid0(VALU_DEP_1)
	v_and_b32_e32 v9, 1, v3
	v_lshlrev_b32_e32 v78, 30, v3
	v_lshlrev_b32_e32 v79, 29, v3
	;; [unrolled: 1-line block ×4, first 2 shown]
	v_add_co_u32 v9, s24, v9, -1
	s_delay_alu instid0(VALU_DEP_1)
	v_cndmask_b32_e64 v81, 0, 1, s24
	v_not_b32_e32 v85, v78
	v_cmp_gt_i32_e64 s25, 0, v78
	v_not_b32_e32 v78, v79
	v_lshlrev_b32_e32 v83, 26, v3
	v_cmp_ne_u32_e64 s24, 0, v81
	v_ashrrev_i32_e32 v85, 31, v85
	v_lshlrev_b32_e32 v84, 25, v3
	v_ashrrev_i32_e32 v78, 31, v78
	v_lshlrev_b32_e32 v81, 24, v3
	v_xor_b32_e32 v9, s24, v9
	v_cmp_gt_i32_e64 s24, 0, v79
	v_not_b32_e32 v79, v80
	v_xor_b32_e32 v85, s25, v85
	v_cmp_gt_i32_e64 s25, 0, v80
	v_and_b32_e32 v9, exec_lo, v9
	v_not_b32_e32 v80, v82
	v_ashrrev_i32_e32 v79, 31, v79
	v_xor_b32_e32 v78, s24, v78
	v_cmp_gt_i32_e64 s24, 0, v82
	v_and_b32_e32 v9, v9, v85
	v_not_b32_e32 v82, v83
	v_ashrrev_i32_e32 v80, 31, v80
	v_xor_b32_e32 v79, s25, v79
	v_cmp_gt_i32_e64 s25, 0, v83
	v_and_b32_e32 v9, v9, v78
	;; [unrolled: 5-line block ×3, first 2 shown]
	v_not_b32_e32 v79, v81
	v_ashrrev_i32_e32 v78, 31, v78
	v_xor_b32_e32 v82, s25, v82
	v_lshl_add_u32 v3, v3, 4, v3
	v_and_b32_e32 v9, v9, v80
	v_cmp_gt_i32_e64 s25, 0, v81
	v_ashrrev_i32_e32 v79, 31, v79
	v_xor_b32_e32 v78, s24, v78
	v_add_lshl_u32 v81, v2, v3, 2
	v_and_b32_e32 v9, v9, v82
	s_delay_alu instid0(VALU_DEP_4) | instskip(SKIP_2) | instid1(VALU_DEP_1)
	v_xor_b32_e32 v3, s25, v79
	ds_load_b32 v79, v81 offset:64
	v_and_b32_e32 v9, v9, v78
	; wave barrier
	v_and_b32_e32 v3, v9, v3
	s_delay_alu instid0(VALU_DEP_1) | instskip(SKIP_1) | instid1(VALU_DEP_2)
	v_mbcnt_lo_u32_b32 v80, v3, 0
	v_cmp_ne_u32_e64 s25, 0, v3
	v_cmp_eq_u32_e64 s24, 0, v80
	s_delay_alu instid0(VALU_DEP_1) | instskip(NEXT) | instid1(SALU_CYCLE_1)
	s_and_b32 s25, s25, s24
	s_and_saveexec_b32 s24, s25
	s_cbranch_execz .LBB15_79
; %bb.78:
	s_waitcnt lgkmcnt(0)
	v_bcnt_u32_b32 v3, v3, v79
	ds_store_b32 v81, v3 offset:64
.LBB15_79:
	s_or_b32 exec_lo, exec_lo, s24
	v_xor_b32_e32 v78, 0x7fffffff, v8
	; wave barrier
	s_delay_alu instid0(VALU_DEP_1) | instskip(NEXT) | instid1(VALU_DEP_1)
	v_lshrrev_b32_e32 v3, s64, v78
	v_and_b32_e32 v3, s51, v3
	s_delay_alu instid0(VALU_DEP_1)
	v_and_b32_e32 v8, 1, v3
	v_lshlrev_b32_e32 v9, 30, v3
	v_lshlrev_b32_e32 v82, 29, v3
	;; [unrolled: 1-line block ×4, first 2 shown]
	v_add_co_u32 v8, s24, v8, -1
	s_delay_alu instid0(VALU_DEP_1)
	v_cndmask_b32_e64 v84, 0, 1, s24
	v_not_b32_e32 v88, v9
	v_cmp_gt_i32_e64 s25, 0, v9
	v_not_b32_e32 v9, v82
	v_lshlrev_b32_e32 v86, 26, v3
	v_cmp_ne_u32_e64 s24, 0, v84
	v_ashrrev_i32_e32 v88, 31, v88
	v_lshlrev_b32_e32 v87, 25, v3
	v_ashrrev_i32_e32 v9, 31, v9
	v_lshlrev_b32_e32 v84, 24, v3
	v_xor_b32_e32 v8, s24, v8
	v_cmp_gt_i32_e64 s24, 0, v82
	v_not_b32_e32 v82, v83
	v_xor_b32_e32 v88, s25, v88
	v_cmp_gt_i32_e64 s25, 0, v83
	v_and_b32_e32 v8, exec_lo, v8
	v_not_b32_e32 v83, v85
	v_ashrrev_i32_e32 v82, 31, v82
	v_xor_b32_e32 v9, s24, v9
	v_cmp_gt_i32_e64 s24, 0, v85
	v_and_b32_e32 v8, v8, v88
	v_not_b32_e32 v85, v86
	v_ashrrev_i32_e32 v83, 31, v83
	v_xor_b32_e32 v82, s25, v82
	v_cmp_gt_i32_e64 s25, 0, v86
	v_and_b32_e32 v8, v8, v9
	;; [unrolled: 5-line block ×3, first 2 shown]
	v_not_b32_e32 v82, v84
	v_ashrrev_i32_e32 v9, 31, v9
	v_xor_b32_e32 v85, s25, v85
	v_lshl_add_u32 v3, v3, 4, v3
	v_and_b32_e32 v8, v8, v83
	v_cmp_gt_i32_e64 s25, 0, v84
	v_ashrrev_i32_e32 v82, 31, v82
	v_xor_b32_e32 v9, s24, v9
	s_delay_alu instid0(VALU_DEP_4) | instskip(SKIP_1) | instid1(VALU_DEP_4)
	v_and_b32_e32 v8, v8, v85
	v_add_lshl_u32 v85, v2, v3, 2
	v_xor_b32_e32 v3, s25, v82
	s_delay_alu instid0(VALU_DEP_3) | instskip(SKIP_2) | instid1(VALU_DEP_1)
	v_and_b32_e32 v8, v8, v9
	ds_load_b32 v83, v85 offset:64
	; wave barrier
	v_and_b32_e32 v3, v8, v3
	v_mbcnt_lo_u32_b32 v84, v3, 0
	v_cmp_ne_u32_e64 s25, 0, v3
	s_delay_alu instid0(VALU_DEP_2) | instskip(NEXT) | instid1(VALU_DEP_1)
	v_cmp_eq_u32_e64 s24, 0, v84
	s_and_b32 s25, s25, s24
	s_delay_alu instid0(SALU_CYCLE_1)
	s_and_saveexec_b32 s24, s25
	s_cbranch_execz .LBB15_81
; %bb.80:
	s_waitcnt lgkmcnt(0)
	v_bcnt_u32_b32 v3, v3, v83
	ds_store_b32 v85, v3 offset:64
.LBB15_81:
	s_or_b32 exec_lo, exec_lo, s24
	v_xor_b32_e32 v82, 0x7fffffff, v7
	; wave barrier
	s_delay_alu instid0(VALU_DEP_1) | instskip(NEXT) | instid1(VALU_DEP_1)
	v_lshrrev_b32_e32 v3, s64, v82
	v_and_b32_e32 v3, s51, v3
	s_delay_alu instid0(VALU_DEP_1)
	v_and_b32_e32 v7, 1, v3
	v_lshlrev_b32_e32 v8, 30, v3
	v_lshlrev_b32_e32 v9, 29, v3
	;; [unrolled: 1-line block ×4, first 2 shown]
	v_add_co_u32 v7, s24, v7, -1
	s_delay_alu instid0(VALU_DEP_1)
	v_cndmask_b32_e64 v87, 0, 1, s24
	v_not_b32_e32 v91, v8
	v_cmp_gt_i32_e64 s25, 0, v8
	v_not_b32_e32 v8, v9
	v_lshlrev_b32_e32 v89, 26, v3
	v_cmp_ne_u32_e64 s24, 0, v87
	v_ashrrev_i32_e32 v91, 31, v91
	v_lshlrev_b32_e32 v90, 25, v3
	v_ashrrev_i32_e32 v8, 31, v8
	v_lshlrev_b32_e32 v87, 24, v3
	v_xor_b32_e32 v7, s24, v7
	v_cmp_gt_i32_e64 s24, 0, v9
	v_not_b32_e32 v9, v86
	v_xor_b32_e32 v91, s25, v91
	v_cmp_gt_i32_e64 s25, 0, v86
	v_and_b32_e32 v7, exec_lo, v7
	v_not_b32_e32 v86, v88
	v_ashrrev_i32_e32 v9, 31, v9
	v_xor_b32_e32 v8, s24, v8
	v_cmp_gt_i32_e64 s24, 0, v88
	v_and_b32_e32 v7, v7, v91
	v_not_b32_e32 v88, v89
	v_ashrrev_i32_e32 v86, 31, v86
	v_xor_b32_e32 v9, s25, v9
	v_cmp_gt_i32_e64 s25, 0, v89
	v_and_b32_e32 v7, v7, v8
	;; [unrolled: 5-line block ×3, first 2 shown]
	v_not_b32_e32 v9, v87
	v_ashrrev_i32_e32 v8, 31, v8
	v_xor_b32_e32 v88, s25, v88
	v_lshl_add_u32 v3, v3, 4, v3
	v_and_b32_e32 v7, v7, v86
	v_cmp_gt_i32_e64 s25, 0, v87
	v_ashrrev_i32_e32 v9, 31, v9
	v_xor_b32_e32 v8, s24, v8
	v_add_lshl_u32 v89, v2, v3, 2
	v_and_b32_e32 v7, v7, v88
	s_delay_alu instid0(VALU_DEP_4) | instskip(SKIP_2) | instid1(VALU_DEP_1)
	v_xor_b32_e32 v3, s25, v9
	ds_load_b32 v87, v89 offset:64
	v_and_b32_e32 v7, v7, v8
	; wave barrier
	v_and_b32_e32 v3, v7, v3
	s_delay_alu instid0(VALU_DEP_1) | instskip(SKIP_1) | instid1(VALU_DEP_2)
	v_mbcnt_lo_u32_b32 v88, v3, 0
	v_cmp_ne_u32_e64 s25, 0, v3
	v_cmp_eq_u32_e64 s24, 0, v88
	s_delay_alu instid0(VALU_DEP_1) | instskip(NEXT) | instid1(SALU_CYCLE_1)
	s_and_b32 s25, s25, s24
	s_and_saveexec_b32 s24, s25
	s_cbranch_execz .LBB15_83
; %bb.82:
	s_waitcnt lgkmcnt(0)
	v_bcnt_u32_b32 v3, v3, v87
	ds_store_b32 v89, v3 offset:64
.LBB15_83:
	s_or_b32 exec_lo, exec_lo, s24
	v_xor_b32_e32 v86, 0x7fffffff, v6
	; wave barrier
	s_delay_alu instid0(VALU_DEP_1) | instskip(NEXT) | instid1(VALU_DEP_1)
	v_lshrrev_b32_e32 v3, s64, v86
	v_and_b32_e32 v3, s51, v3
	s_delay_alu instid0(VALU_DEP_1)
	v_and_b32_e32 v6, 1, v3
	v_lshlrev_b32_e32 v7, 30, v3
	v_lshlrev_b32_e32 v8, 29, v3
	;; [unrolled: 1-line block ×4, first 2 shown]
	v_add_co_u32 v6, s24, v6, -1
	s_delay_alu instid0(VALU_DEP_1)
	v_cndmask_b32_e64 v90, 0, 1, s24
	v_not_b32_e32 v94, v7
	v_cmp_gt_i32_e64 s25, 0, v7
	v_not_b32_e32 v7, v8
	v_lshlrev_b32_e32 v92, 26, v3
	v_cmp_ne_u32_e64 s24, 0, v90
	v_ashrrev_i32_e32 v94, 31, v94
	v_lshlrev_b32_e32 v93, 25, v3
	v_ashrrev_i32_e32 v7, 31, v7
	v_lshlrev_b32_e32 v90, 24, v3
	v_xor_b32_e32 v6, s24, v6
	v_cmp_gt_i32_e64 s24, 0, v8
	v_not_b32_e32 v8, v9
	v_xor_b32_e32 v94, s25, v94
	v_cmp_gt_i32_e64 s25, 0, v9
	v_and_b32_e32 v6, exec_lo, v6
	v_not_b32_e32 v9, v91
	v_ashrrev_i32_e32 v8, 31, v8
	v_xor_b32_e32 v7, s24, v7
	v_cmp_gt_i32_e64 s24, 0, v91
	v_and_b32_e32 v6, v6, v94
	v_not_b32_e32 v91, v92
	v_ashrrev_i32_e32 v9, 31, v9
	v_xor_b32_e32 v8, s25, v8
	v_cmp_gt_i32_e64 s25, 0, v92
	v_and_b32_e32 v6, v6, v7
	;; [unrolled: 5-line block ×3, first 2 shown]
	v_not_b32_e32 v8, v90
	v_ashrrev_i32_e32 v7, 31, v7
	v_xor_b32_e32 v91, s25, v91
	v_lshl_add_u32 v3, v3, 4, v3
	v_and_b32_e32 v6, v6, v9
	v_cmp_gt_i32_e64 s25, 0, v90
	v_ashrrev_i32_e32 v8, 31, v8
	v_xor_b32_e32 v7, s24, v7
	v_add_lshl_u32 v93, v2, v3, 2
	v_and_b32_e32 v6, v6, v91
	s_delay_alu instid0(VALU_DEP_4) | instskip(SKIP_2) | instid1(VALU_DEP_1)
	v_xor_b32_e32 v3, s25, v8
	ds_load_b32 v91, v93 offset:64
	v_and_b32_e32 v6, v6, v7
	; wave barrier
	v_and_b32_e32 v3, v6, v3
	s_delay_alu instid0(VALU_DEP_1) | instskip(SKIP_1) | instid1(VALU_DEP_2)
	v_mbcnt_lo_u32_b32 v92, v3, 0
	v_cmp_ne_u32_e64 s25, 0, v3
	v_cmp_eq_u32_e64 s24, 0, v92
	s_delay_alu instid0(VALU_DEP_1) | instskip(NEXT) | instid1(SALU_CYCLE_1)
	s_and_b32 s25, s25, s24
	s_and_saveexec_b32 s24, s25
	s_cbranch_execz .LBB15_85
; %bb.84:
	s_waitcnt lgkmcnt(0)
	v_bcnt_u32_b32 v3, v3, v91
	ds_store_b32 v93, v3 offset:64
.LBB15_85:
	s_or_b32 exec_lo, exec_lo, s24
	v_xor_b32_e32 v90, 0x7fffffff, v5
	; wave barrier
	s_delay_alu instid0(VALU_DEP_1) | instskip(NEXT) | instid1(VALU_DEP_1)
	v_lshrrev_b32_e32 v3, s64, v90
	v_and_b32_e32 v3, s51, v3
	s_delay_alu instid0(VALU_DEP_1)
	v_and_b32_e32 v5, 1, v3
	v_lshlrev_b32_e32 v6, 30, v3
	v_lshlrev_b32_e32 v7, 29, v3
	;; [unrolled: 1-line block ×4, first 2 shown]
	v_add_co_u32 v5, s24, v5, -1
	s_delay_alu instid0(VALU_DEP_1)
	v_cndmask_b32_e64 v9, 0, 1, s24
	v_not_b32_e32 v97, v6
	v_cmp_gt_i32_e64 s25, 0, v6
	v_not_b32_e32 v6, v7
	v_lshlrev_b32_e32 v95, 26, v3
	v_cmp_ne_u32_e64 s24, 0, v9
	v_ashrrev_i32_e32 v97, 31, v97
	v_lshlrev_b32_e32 v96, 25, v3
	v_ashrrev_i32_e32 v6, 31, v6
	v_lshlrev_b32_e32 v9, 24, v3
	v_xor_b32_e32 v5, s24, v5
	v_cmp_gt_i32_e64 s24, 0, v7
	v_not_b32_e32 v7, v8
	v_xor_b32_e32 v97, s25, v97
	v_cmp_gt_i32_e64 s25, 0, v8
	v_and_b32_e32 v5, exec_lo, v5
	v_not_b32_e32 v8, v94
	v_ashrrev_i32_e32 v7, 31, v7
	v_xor_b32_e32 v6, s24, v6
	v_cmp_gt_i32_e64 s24, 0, v94
	v_and_b32_e32 v5, v5, v97
	v_not_b32_e32 v94, v95
	v_ashrrev_i32_e32 v8, 31, v8
	v_xor_b32_e32 v7, s25, v7
	v_cmp_gt_i32_e64 s25, 0, v95
	v_and_b32_e32 v5, v5, v6
	;; [unrolled: 5-line block ×3, first 2 shown]
	v_not_b32_e32 v7, v9
	v_ashrrev_i32_e32 v6, 31, v6
	v_xor_b32_e32 v94, s25, v94
	v_lshl_add_u32 v3, v3, 4, v3
	v_and_b32_e32 v5, v5, v8
	v_cmp_gt_i32_e64 s25, 0, v9
	v_ashrrev_i32_e32 v7, 31, v7
	v_xor_b32_e32 v6, s24, v6
	v_add_lshl_u32 v97, v2, v3, 2
	v_and_b32_e32 v5, v5, v94
	s_delay_alu instid0(VALU_DEP_4) | instskip(SKIP_2) | instid1(VALU_DEP_1)
	v_xor_b32_e32 v3, s25, v7
	ds_load_b32 v95, v97 offset:64
	v_and_b32_e32 v5, v5, v6
	; wave barrier
	v_and_b32_e32 v3, v5, v3
	s_delay_alu instid0(VALU_DEP_1) | instskip(SKIP_1) | instid1(VALU_DEP_2)
	v_mbcnt_lo_u32_b32 v96, v3, 0
	v_cmp_ne_u32_e64 s25, 0, v3
	v_cmp_eq_u32_e64 s24, 0, v96
	s_delay_alu instid0(VALU_DEP_1) | instskip(NEXT) | instid1(SALU_CYCLE_1)
	s_and_b32 s25, s25, s24
	s_and_saveexec_b32 s24, s25
	s_cbranch_execz .LBB15_87
; %bb.86:
	s_waitcnt lgkmcnt(0)
	v_bcnt_u32_b32 v3, v3, v95
	ds_store_b32 v97, v3 offset:64
.LBB15_87:
	s_or_b32 exec_lo, exec_lo, s24
	v_xor_b32_e32 v94, 0x7fffffff, v4
	; wave barrier
	v_add_nc_u32_e32 v101, 64, v16
	s_delay_alu instid0(VALU_DEP_2) | instskip(NEXT) | instid1(VALU_DEP_1)
	v_lshrrev_b32_e32 v3, s64, v94
	v_and_b32_e32 v3, s51, v3
	s_delay_alu instid0(VALU_DEP_1)
	v_and_b32_e32 v4, 1, v3
	v_lshlrev_b32_e32 v5, 30, v3
	v_lshlrev_b32_e32 v6, 29, v3
	;; [unrolled: 1-line block ×4, first 2 shown]
	v_add_co_u32 v4, s24, v4, -1
	s_delay_alu instid0(VALU_DEP_1)
	v_cndmask_b32_e64 v8, 0, 1, s24
	v_not_b32_e32 v100, v5
	v_cmp_gt_i32_e64 s25, 0, v5
	v_not_b32_e32 v5, v6
	v_lshlrev_b32_e32 v98, 26, v3
	v_cmp_ne_u32_e64 s24, 0, v8
	v_ashrrev_i32_e32 v100, 31, v100
	v_lshlrev_b32_e32 v99, 25, v3
	v_ashrrev_i32_e32 v5, 31, v5
	v_lshlrev_b32_e32 v8, 24, v3
	v_xor_b32_e32 v4, s24, v4
	v_cmp_gt_i32_e64 s24, 0, v6
	v_not_b32_e32 v6, v7
	v_xor_b32_e32 v100, s25, v100
	v_cmp_gt_i32_e64 s25, 0, v7
	v_and_b32_e32 v4, exec_lo, v4
	v_not_b32_e32 v7, v9
	v_ashrrev_i32_e32 v6, 31, v6
	v_xor_b32_e32 v5, s24, v5
	v_cmp_gt_i32_e64 s24, 0, v9
	v_and_b32_e32 v4, v4, v100
	v_not_b32_e32 v9, v98
	v_ashrrev_i32_e32 v7, 31, v7
	v_xor_b32_e32 v6, s25, v6
	v_cmp_gt_i32_e64 s25, 0, v98
	v_and_b32_e32 v4, v4, v5
	;; [unrolled: 5-line block ×3, first 2 shown]
	v_not_b32_e32 v6, v8
	v_ashrrev_i32_e32 v5, 31, v5
	v_xor_b32_e32 v9, s25, v9
	v_lshl_add_u32 v3, v3, 4, v3
	v_and_b32_e32 v4, v4, v7
	v_cmp_gt_i32_e64 s25, 0, v8
	v_ashrrev_i32_e32 v6, 31, v6
	v_xor_b32_e32 v5, s24, v5
	v_add_lshl_u32 v100, v2, v3, 2
	v_and_b32_e32 v4, v4, v9
	s_delay_alu instid0(VALU_DEP_4) | instskip(SKIP_2) | instid1(VALU_DEP_1)
	v_xor_b32_e32 v2, s25, v6
	ds_load_b32 v98, v100 offset:64
	v_and_b32_e32 v3, v4, v5
	; wave barrier
	v_and_b32_e32 v2, v3, v2
	s_delay_alu instid0(VALU_DEP_1) | instskip(SKIP_1) | instid1(VALU_DEP_2)
	v_mbcnt_lo_u32_b32 v99, v2, 0
	v_cmp_ne_u32_e64 s25, 0, v2
	v_cmp_eq_u32_e64 s24, 0, v99
	s_delay_alu instid0(VALU_DEP_1) | instskip(NEXT) | instid1(SALU_CYCLE_1)
	s_and_b32 s25, s25, s24
	s_and_saveexec_b32 s24, s25
	s_cbranch_execz .LBB15_89
; %bb.88:
	s_waitcnt lgkmcnt(0)
	v_bcnt_u32_b32 v2, v2, v98
	ds_store_b32 v100, v2 offset:64
.LBB15_89:
	s_or_b32 exec_lo, exec_lo, s24
	; wave barrier
	s_waitcnt lgkmcnt(0)
	s_barrier
	buffer_gl0_inv
	ds_load_2addr_b32 v[8:9], v16 offset0:16 offset1:17
	ds_load_2addr_b32 v[6:7], v101 offset0:2 offset1:3
	;; [unrolled: 1-line block ×4, first 2 shown]
	ds_load_b32 v102, v101 offset:32
	v_min_u32_e32 v12, 0x1e0, v12
	s_mov_b32 s29, exec_lo
	s_delay_alu instid0(VALU_DEP_1) | instskip(SKIP_3) | instid1(VALU_DEP_1)
	v_or_b32_e32 v12, 31, v12
	s_waitcnt lgkmcnt(3)
	v_add3_u32 v103, v9, v8, v6
	s_waitcnt lgkmcnt(2)
	v_add3_u32 v103, v103, v7, v4
	s_waitcnt lgkmcnt(1)
	s_delay_alu instid0(VALU_DEP_1) | instskip(SKIP_1) | instid1(VALU_DEP_1)
	v_add3_u32 v103, v103, v5, v2
	s_waitcnt lgkmcnt(0)
	v_add3_u32 v102, v103, v3, v102
	v_and_b32_e32 v103, 15, v11
	s_delay_alu instid0(VALU_DEP_2) | instskip(NEXT) | instid1(VALU_DEP_2)
	v_mov_b32_dpp v104, v102 row_shr:1 row_mask:0xf bank_mask:0xf
	v_cmp_eq_u32_e64 s24, 0, v103
	v_cmp_lt_u32_e64 s25, 1, v103
	v_cmp_lt_u32_e64 s26, 3, v103
	;; [unrolled: 1-line block ×3, first 2 shown]
	s_delay_alu instid0(VALU_DEP_4) | instskip(NEXT) | instid1(VALU_DEP_1)
	v_cndmask_b32_e64 v104, v104, 0, s24
	v_add_nc_u32_e32 v102, v104, v102
	s_delay_alu instid0(VALU_DEP_1) | instskip(NEXT) | instid1(VALU_DEP_1)
	v_mov_b32_dpp v104, v102 row_shr:2 row_mask:0xf bank_mask:0xf
	v_cndmask_b32_e64 v104, 0, v104, s25
	s_delay_alu instid0(VALU_DEP_1) | instskip(NEXT) | instid1(VALU_DEP_1)
	v_add_nc_u32_e32 v102, v102, v104
	v_mov_b32_dpp v104, v102 row_shr:4 row_mask:0xf bank_mask:0xf
	s_delay_alu instid0(VALU_DEP_1) | instskip(NEXT) | instid1(VALU_DEP_1)
	v_cndmask_b32_e64 v104, 0, v104, s26
	v_add_nc_u32_e32 v102, v102, v104
	s_delay_alu instid0(VALU_DEP_1) | instskip(NEXT) | instid1(VALU_DEP_1)
	v_mov_b32_dpp v104, v102 row_shr:8 row_mask:0xf bank_mask:0xf
	v_cndmask_b32_e64 v103, 0, v104, s27
	v_bfe_i32 v104, v11, 4, 1
	s_delay_alu instid0(VALU_DEP_2) | instskip(SKIP_4) | instid1(VALU_DEP_2)
	v_add_nc_u32_e32 v102, v102, v103
	ds_swizzle_b32 v103, v102 offset:swizzle(BROADCAST,32,15)
	s_waitcnt lgkmcnt(0)
	v_and_b32_e32 v104, v104, v103
	v_lshrrev_b32_e32 v103, 5, v1
	v_add_nc_u32_e32 v102, v102, v104
	v_cmpx_eq_u32_e64 v12, v1
	s_cbranch_execz .LBB15_91
; %bb.90:
	s_delay_alu instid0(VALU_DEP_3)
	v_lshlrev_b32_e32 v12, 2, v103
	ds_store_b32 v12, v102
.LBB15_91:
	s_or_b32 exec_lo, exec_lo, s29
	v_lshlrev_b32_e32 v12, 2, v1
	s_mov_b32 s29, exec_lo
	s_waitcnt lgkmcnt(0)
	s_barrier
	buffer_gl0_inv
	v_cmpx_gt_u32_e32 16, v1
	s_cbranch_execz .LBB15_93
; %bb.92:
	ds_load_b32 v104, v12
	s_waitcnt lgkmcnt(0)
	v_mov_b32_dpp v105, v104 row_shr:1 row_mask:0xf bank_mask:0xf
	s_delay_alu instid0(VALU_DEP_1) | instskip(NEXT) | instid1(VALU_DEP_1)
	v_cndmask_b32_e64 v105, v105, 0, s24
	v_add_nc_u32_e32 v104, v105, v104
	s_delay_alu instid0(VALU_DEP_1) | instskip(NEXT) | instid1(VALU_DEP_1)
	v_mov_b32_dpp v105, v104 row_shr:2 row_mask:0xf bank_mask:0xf
	v_cndmask_b32_e64 v105, 0, v105, s25
	s_delay_alu instid0(VALU_DEP_1) | instskip(NEXT) | instid1(VALU_DEP_1)
	v_add_nc_u32_e32 v104, v104, v105
	v_mov_b32_dpp v105, v104 row_shr:4 row_mask:0xf bank_mask:0xf
	s_delay_alu instid0(VALU_DEP_1) | instskip(NEXT) | instid1(VALU_DEP_1)
	v_cndmask_b32_e64 v105, 0, v105, s26
	v_add_nc_u32_e32 v104, v104, v105
	s_delay_alu instid0(VALU_DEP_1) | instskip(NEXT) | instid1(VALU_DEP_1)
	v_mov_b32_dpp v105, v104 row_shr:8 row_mask:0xf bank_mask:0xf
	v_cndmask_b32_e64 v105, 0, v105, s27
	s_delay_alu instid0(VALU_DEP_1)
	v_add_nc_u32_e32 v104, v104, v105
	ds_store_b32 v12, v104
.LBB15_93:
	s_or_b32 exec_lo, exec_lo, s29
	v_mov_b32_e32 v104, 0
	s_mov_b32 s25, exec_lo
	s_waitcnt lgkmcnt(0)
	s_barrier
	buffer_gl0_inv
	v_cmpx_lt_u32_e32 31, v1
	s_cbranch_execz .LBB15_95
; %bb.94:
	v_lshl_add_u32 v103, v103, 2, -4
	ds_load_b32 v104, v103
.LBB15_95:
	s_or_b32 exec_lo, exec_lo, s25
	v_add_nc_u32_e32 v103, -1, v11
	s_waitcnt lgkmcnt(0)
	v_add_nc_u32_e32 v102, v104, v102
	s_delay_alu instid0(VALU_DEP_2) | instskip(NEXT) | instid1(VALU_DEP_1)
	v_cmp_gt_i32_e64 s24, 0, v103
	v_cndmask_b32_e64 v103, v103, v11, s24
	v_cmp_eq_u32_e64 s24, 0, v11
	s_delay_alu instid0(VALU_DEP_2) | instskip(SKIP_4) | instid1(VALU_DEP_1)
	v_lshlrev_b32_e32 v103, 2, v103
	ds_bpermute_b32 v102, v103, v102
	s_waitcnt lgkmcnt(0)
	v_cndmask_b32_e64 v102, v102, v104, s24
	v_cmp_ne_u32_e64 s24, 0, v1
	v_cndmask_b32_e64 v102, 0, v102, s24
	v_cmp_gt_u32_e64 s24, 0x100, v1
	s_delay_alu instid0(VALU_DEP_2) | instskip(NEXT) | instid1(VALU_DEP_1)
	v_add_nc_u32_e32 v8, v102, v8
	v_add_nc_u32_e32 v9, v8, v9
	s_delay_alu instid0(VALU_DEP_1) | instskip(NEXT) | instid1(VALU_DEP_1)
	v_add_nc_u32_e32 v6, v9, v6
	v_add_nc_u32_e32 v7, v6, v7
	s_delay_alu instid0(VALU_DEP_1) | instskip(NEXT) | instid1(VALU_DEP_1)
	;; [unrolled: 3-line block ×3, first 2 shown]
	v_add_nc_u32_e32 v2, v5, v2
	v_add_nc_u32_e32 v3, v2, v3
	ds_store_2addr_b32 v16, v102, v8 offset0:16 offset1:17
	ds_store_2addr_b32 v101, v9, v6 offset0:2 offset1:3
	ds_store_2addr_b32 v101, v7, v4 offset0:4 offset1:5
	ds_store_2addr_b32 v101, v5, v2 offset0:6 offset1:7
	ds_store_b32 v101, v3 offset:32
	s_waitcnt lgkmcnt(0)
	s_barrier
	buffer_gl0_inv
	ds_load_b32 v2, v17 offset:64
	ds_load_b32 v3, v21 offset:64
	;; [unrolled: 1-line block ×22, first 2 shown]
                                        ; implicit-def: $vgpr8
                                        ; implicit-def: $vgpr9
	s_and_saveexec_b32 s26, s24
	s_cbranch_execz .LBB15_99
; %bb.96:
	v_mul_u32_u24_e32 v8, 17, v1
	s_mov_b32 s27, exec_lo
	s_delay_alu instid0(VALU_DEP_1)
	v_dual_mov_b32 v9, 0x2c00 :: v_dual_lshlrev_b32 v16, 2, v8
	ds_load_b32 v8, v16 offset:64
	v_cmpx_ne_u32_e32 0xff, v1
	s_cbranch_execz .LBB15_98
; %bb.97:
	ds_load_b32 v9, v16 offset:132
.LBB15_98:
	s_or_b32 exec_lo, exec_lo, s27
	s_waitcnt lgkmcnt(0)
	v_sub_nc_u32_e32 v9, v9, v8
.LBB15_99:
	s_or_b32 exec_lo, exec_lo, s26
	s_waitcnt lgkmcnt(21)
	v_add_nc_u32_e32 v15, v2, v15
	s_waitcnt lgkmcnt(20)
	v_add3_u32 v16, v20, v19, v3
	s_waitcnt lgkmcnt(19)
	v_add3_u32 v17, v24, v23, v4
	;; [unrolled: 2-line block ×4, first 2 shown]
	v_lshlrev_b32_e32 v2, 2, v15
	v_lshlrev_b32_e32 v3, 2, v16
	s_waitcnt lgkmcnt(16)
	v_add3_u32 v21, v36, v35, v7
	s_waitcnt lgkmcnt(15)
	v_add3_u32 v23, v40, v39, v25
	;; [unrolled: 2-line block ×3, first 2 shown]
	s_waitcnt lgkmcnt(0)
	s_barrier
	buffer_gl0_inv
	ds_store_b32 v2, v13 offset:2048
	ds_store_b32 v3, v14 offset:2048
	v_lshlrev_b32_e32 v2, 2, v17
	v_add3_u32 v25, v50, v49, v33
	v_lshlrev_b32_e32 v3, 2, v19
	v_add3_u32 v27, v55, v54, v37
	;; [unrolled: 2-line block ×5, first 2 shown]
	ds_store_b32 v2, v18 offset:2048
	ds_store_b32 v3, v22 offset:2048
	;; [unrolled: 1-line block ×5, first 2 shown]
	v_lshlrev_b32_e32 v2, 2, v24
	v_add3_u32 v32, v69, v68, v57
	v_lshlrev_b32_e32 v3, 2, v25
	v_add3_u32 v33, v73, v72, v61
	;; [unrolled: 2-line block ×5, first 2 shown]
	ds_store_b32 v2, v38 offset:2048
	ds_store_b32 v3, v43 offset:2048
	;; [unrolled: 1-line block ×5, first 2 shown]
	v_lshlrev_b32_e32 v2, 2, v31
	v_add3_u32 v39, v88, v87, v74
	v_lshlrev_b32_e32 v3, 2, v32
	v_add3_u32 v40, v92, v91, v77
	;; [unrolled: 2-line block ×4, first 2 shown]
	v_lshlrev_b32_e32 v6, 2, v36
	ds_store_b32 v2, v56 offset:2048
	ds_store_b32 v3, v51 offset:2048
	;; [unrolled: 1-line block ×5, first 2 shown]
	v_lshlrev_b32_e32 v2, 2, v37
	v_lshlrev_b32_e32 v3, 2, v39
	;; [unrolled: 1-line block ×5, first 2 shown]
	ds_store_b32 v2, v78 offset:2048
	ds_store_b32 v3, v82 offset:2048
	;; [unrolled: 1-line block ×5, first 2 shown]
	s_waitcnt lgkmcnt(0)
	s_barrier
	buffer_gl0_inv
	s_and_saveexec_b32 s26, s24
	s_cbranch_execz .LBB15_109
; %bb.100:
	v_lshl_or_b32 v4, s15, 8, v1
	v_mov_b32_e32 v5, 0
	v_mov_b32_e32 v13, 0
	s_mov_b32 s27, 0
	s_mov_b32 s28, s15
	s_delay_alu instid0(VALU_DEP_2) | instskip(SKIP_1) | instid1(VALU_DEP_2)
	v_lshlrev_b64 v[2:3], 2, v[4:5]
	v_or_b32_e32 v4, 2.0, v9
	v_add_co_u32 v2, s25, s68, v2
	s_delay_alu instid0(VALU_DEP_1)
	v_add_co_ci_u32_e64 v3, s25, s69, v3, s25
                                        ; implicit-def: $sgpr25
	global_store_b32 v[2:3], v4, off
	s_branch .LBB15_102
	.p2align	6
.LBB15_101:                             ;   in Loop: Header=BB15_102 Depth=1
	s_or_b32 exec_lo, exec_lo, s29
	v_and_b32_e32 v6, 0x3fffffff, v14
	v_cmp_eq_u32_e64 s25, 0x80000000, v4
	s_delay_alu instid0(VALU_DEP_2) | instskip(NEXT) | instid1(VALU_DEP_2)
	v_add_nc_u32_e32 v13, v6, v13
	s_and_b32 s29, exec_lo, s25
	s_delay_alu instid0(SALU_CYCLE_1) | instskip(NEXT) | instid1(SALU_CYCLE_1)
	s_or_b32 s27, s29, s27
	s_and_not1_b32 exec_lo, exec_lo, s27
	s_cbranch_execz .LBB15_108
.LBB15_102:                             ; =>This Loop Header: Depth=1
                                        ;     Child Loop BB15_105 Depth 2
	s_or_b32 s25, s25, exec_lo
	s_cmp_eq_u32 s28, 0
	s_cbranch_scc1 .LBB15_107
; %bb.103:                              ;   in Loop: Header=BB15_102 Depth=1
	s_add_i32 s28, s28, -1
	s_mov_b32 s29, exec_lo
	v_lshl_or_b32 v4, s28, 8, v1
	s_delay_alu instid0(VALU_DEP_1) | instskip(NEXT) | instid1(VALU_DEP_1)
	v_lshlrev_b64 v[6:7], 2, v[4:5]
	v_add_co_u32 v6, s25, s68, v6
	s_delay_alu instid0(VALU_DEP_1) | instskip(SKIP_3) | instid1(VALU_DEP_1)
	v_add_co_ci_u32_e64 v7, s25, s69, v7, s25
	global_load_b32 v14, v[6:7], off glc
	s_waitcnt vmcnt(0)
	v_and_b32_e32 v4, -2.0, v14
	v_cmpx_eq_u32_e32 0, v4
	s_cbranch_execz .LBB15_101
; %bb.104:                              ;   in Loop: Header=BB15_102 Depth=1
	s_mov_b32 s30, 0
.LBB15_105:                             ;   Parent Loop BB15_102 Depth=1
                                        ; =>  This Inner Loop Header: Depth=2
	global_load_b32 v14, v[6:7], off glc
	s_waitcnt vmcnt(0)
	v_and_b32_e32 v4, -2.0, v14
	s_delay_alu instid0(VALU_DEP_1) | instskip(NEXT) | instid1(VALU_DEP_1)
	v_cmp_ne_u32_e64 s25, 0, v4
	s_or_b32 s30, s25, s30
	s_delay_alu instid0(SALU_CYCLE_1)
	s_and_not1_b32 exec_lo, exec_lo, s30
	s_cbranch_execnz .LBB15_105
; %bb.106:                              ;   in Loop: Header=BB15_102 Depth=1
	s_or_b32 exec_lo, exec_lo, s30
	s_branch .LBB15_101
.LBB15_107:                             ;   in Loop: Header=BB15_102 Depth=1
                                        ; implicit-def: $sgpr28
	s_and_b32 s29, exec_lo, s25
	s_delay_alu instid0(SALU_CYCLE_1) | instskip(NEXT) | instid1(SALU_CYCLE_1)
	s_or_b32 s27, s29, s27
	s_and_not1_b32 exec_lo, exec_lo, s27
	s_cbranch_execnz .LBB15_102
.LBB15_108:
	s_or_b32 exec_lo, exec_lo, s27
	v_add_nc_u32_e32 v4, v13, v9
	v_lshlrev_b32_e32 v5, 3, v1
	s_delay_alu instid0(VALU_DEP_2) | instskip(SKIP_3) | instid1(VALU_DEP_1)
	v_or_b32_e32 v4, 0x80000000, v4
	global_store_b32 v[2:3], v4, off
	global_load_b64 v[2:3], v5, s[60:61]
	v_sub_co_u32 v4, s25, v13, v8
	v_sub_co_ci_u32_e64 v6, null, 0, 0, s25
	s_waitcnt vmcnt(0)
	s_delay_alu instid0(VALU_DEP_2) | instskip(NEXT) | instid1(VALU_DEP_1)
	v_add_co_u32 v2, s25, v4, v2
	v_add_co_ci_u32_e64 v3, s25, v6, v3, s25
	ds_store_b64 v5, v[2:3]
.LBB15_109:
	s_or_b32 exec_lo, exec_lo, s26
	v_cmp_gt_u32_e64 s25, s48, v1
	s_waitcnt lgkmcnt(0)
	s_waitcnt_vscnt null, 0x0
	s_barrier
	buffer_gl0_inv
	s_and_saveexec_b32 s27, s25
	s_cbranch_execz .LBB15_111
; %bb.110:
	ds_load_b32 v4, v12 offset:2048
	s_waitcnt lgkmcnt(0)
	v_lshrrev_b32_e32 v2, s64, v4
	v_xor_b32_e32 v4, 0x7fffffff, v4
	s_delay_alu instid0(VALU_DEP_2) | instskip(NEXT) | instid1(VALU_DEP_1)
	v_and_b32_e32 v2, s51, v2
	v_lshlrev_b32_e32 v2, 3, v2
	ds_load_b64 v[2:3], v2
	s_waitcnt lgkmcnt(0)
	v_lshlrev_b64 v[2:3], 2, v[2:3]
	s_delay_alu instid0(VALU_DEP_1) | instskip(NEXT) | instid1(VALU_DEP_1)
	v_add_co_u32 v2, s26, s54, v2
	v_add_co_ci_u32_e64 v3, s26, s55, v3, s26
	s_delay_alu instid0(VALU_DEP_2) | instskip(NEXT) | instid1(VALU_DEP_1)
	v_add_co_u32 v2, s26, v2, v12
	v_add_co_ci_u32_e64 v3, s26, 0, v3, s26
	global_store_b32 v[2:3], v4, off
.LBB15_111:
	s_or_b32 exec_lo, exec_lo, s27
	v_add_nc_u32_e32 v2, 0x200, v1
	s_delay_alu instid0(VALU_DEP_1) | instskip(NEXT) | instid1(VALU_DEP_1)
	v_cmp_gt_u32_e64 s26, s48, v2
	s_and_saveexec_b32 s28, s26
	s_cbranch_execz .LBB15_113
; %bb.112:
	ds_load_b32 v4, v12 offset:4096
	s_waitcnt lgkmcnt(0)
	v_lshrrev_b32_e32 v2, s64, v4
	v_xor_b32_e32 v4, 0x7fffffff, v4
	s_delay_alu instid0(VALU_DEP_2) | instskip(NEXT) | instid1(VALU_DEP_1)
	v_and_b32_e32 v2, s51, v2
	v_lshlrev_b32_e32 v2, 3, v2
	ds_load_b64 v[2:3], v2
	s_waitcnt lgkmcnt(0)
	v_lshlrev_b64 v[2:3], 2, v[2:3]
	s_delay_alu instid0(VALU_DEP_1) | instskip(NEXT) | instid1(VALU_DEP_1)
	v_add_co_u32 v2, s27, s54, v2
	v_add_co_ci_u32_e64 v3, s27, s55, v3, s27
	s_delay_alu instid0(VALU_DEP_2) | instskip(NEXT) | instid1(VALU_DEP_1)
	v_add_co_u32 v2, s27, v2, v12
	v_add_co_ci_u32_e64 v3, s27, 0, v3, s27
	global_store_b32 v[2:3], v4, off offset:2048
.LBB15_113:
	s_or_b32 exec_lo, exec_lo, s28
	v_or_b32_e32 v2, 0x400, v1
	s_delay_alu instid0(VALU_DEP_1) | instskip(NEXT) | instid1(VALU_DEP_1)
	v_cmp_gt_u32_e64 s27, s48, v2
	s_and_saveexec_b32 s29, s27
	s_cbranch_execz .LBB15_115
; %bb.114:
	ds_load_b32 v5, v12 offset:6144
	v_lshlrev_b32_e32 v2, 2, v2
	s_waitcnt lgkmcnt(0)
	v_lshrrev_b32_e32 v3, s64, v5
	v_xor_b32_e32 v5, 0x7fffffff, v5
	s_delay_alu instid0(VALU_DEP_2) | instskip(NEXT) | instid1(VALU_DEP_1)
	v_and_b32_e32 v3, s51, v3
	v_lshlrev_b32_e32 v3, 3, v3
	ds_load_b64 v[3:4], v3
	s_waitcnt lgkmcnt(0)
	v_lshlrev_b64 v[3:4], 2, v[3:4]
	s_delay_alu instid0(VALU_DEP_1) | instskip(NEXT) | instid1(VALU_DEP_1)
	v_add_co_u32 v3, s28, s54, v3
	v_add_co_ci_u32_e64 v4, s28, s55, v4, s28
	s_delay_alu instid0(VALU_DEP_2) | instskip(NEXT) | instid1(VALU_DEP_1)
	v_add_co_u32 v2, s28, v3, v2
	v_add_co_ci_u32_e64 v3, s28, 0, v4, s28
	global_store_b32 v[2:3], v5, off
.LBB15_115:
	s_or_b32 exec_lo, exec_lo, s29
	v_add_nc_u32_e32 v2, 0x600, v1
	s_delay_alu instid0(VALU_DEP_1) | instskip(NEXT) | instid1(VALU_DEP_1)
	v_cmp_gt_u32_e64 s28, s48, v2
	s_and_saveexec_b32 s30, s28
	s_cbranch_execz .LBB15_117
; %bb.116:
	ds_load_b32 v5, v12 offset:8192
	v_lshlrev_b32_e32 v2, 2, v2
	s_waitcnt lgkmcnt(0)
	v_lshrrev_b32_e32 v3, s64, v5
	v_xor_b32_e32 v5, 0x7fffffff, v5
	s_delay_alu instid0(VALU_DEP_2) | instskip(NEXT) | instid1(VALU_DEP_1)
	v_and_b32_e32 v3, s51, v3
	v_lshlrev_b32_e32 v3, 3, v3
	ds_load_b64 v[3:4], v3
	s_waitcnt lgkmcnt(0)
	v_lshlrev_b64 v[3:4], 2, v[3:4]
	s_delay_alu instid0(VALU_DEP_1) | instskip(NEXT) | instid1(VALU_DEP_1)
	v_add_co_u32 v3, s29, s54, v3
	v_add_co_ci_u32_e64 v4, s29, s55, v4, s29
	s_delay_alu instid0(VALU_DEP_2) | instskip(NEXT) | instid1(VALU_DEP_1)
	v_add_co_u32 v2, s29, v3, v2
	v_add_co_ci_u32_e64 v3, s29, 0, v4, s29
	global_store_b32 v[2:3], v5, off
.LBB15_117:
	s_or_b32 exec_lo, exec_lo, s30
	v_or_b32_e32 v2, 0x800, v1
	s_delay_alu instid0(VALU_DEP_1) | instskip(NEXT) | instid1(VALU_DEP_1)
	v_cmp_gt_u32_e64 s29, s48, v2
	s_and_saveexec_b32 s31, s29
	s_cbranch_execz .LBB15_119
; %bb.118:
	ds_load_b32 v5, v12 offset:10240
	v_lshlrev_b32_e32 v2, 2, v2
	s_waitcnt lgkmcnt(0)
	v_lshrrev_b32_e32 v3, s64, v5
	v_xor_b32_e32 v5, 0x7fffffff, v5
	s_delay_alu instid0(VALU_DEP_2) | instskip(NEXT) | instid1(VALU_DEP_1)
	v_and_b32_e32 v3, s51, v3
	v_lshlrev_b32_e32 v3, 3, v3
	ds_load_b64 v[3:4], v3
	s_waitcnt lgkmcnt(0)
	v_lshlrev_b64 v[3:4], 2, v[3:4]
	s_delay_alu instid0(VALU_DEP_1) | instskip(NEXT) | instid1(VALU_DEP_1)
	v_add_co_u32 v3, s30, s54, v3
	v_add_co_ci_u32_e64 v4, s30, s55, v4, s30
	s_delay_alu instid0(VALU_DEP_2) | instskip(NEXT) | instid1(VALU_DEP_1)
	v_add_co_u32 v2, s30, v3, v2
	v_add_co_ci_u32_e64 v3, s30, 0, v4, s30
	global_store_b32 v[2:3], v5, off
.LBB15_119:
	s_or_b32 exec_lo, exec_lo, s31
	v_add_nc_u32_e32 v2, 0xa00, v1
	s_delay_alu instid0(VALU_DEP_1) | instskip(NEXT) | instid1(VALU_DEP_1)
	v_cmp_gt_u32_e64 s30, s48, v2
	s_and_saveexec_b32 s33, s30
	s_cbranch_execz .LBB15_121
; %bb.120:
	ds_load_b32 v5, v12 offset:12288
	v_lshlrev_b32_e32 v2, 2, v2
	s_waitcnt lgkmcnt(0)
	v_lshrrev_b32_e32 v3, s64, v5
	v_xor_b32_e32 v5, 0x7fffffff, v5
	s_delay_alu instid0(VALU_DEP_2) | instskip(NEXT) | instid1(VALU_DEP_1)
	v_and_b32_e32 v3, s51, v3
	v_lshlrev_b32_e32 v3, 3, v3
	ds_load_b64 v[3:4], v3
	s_waitcnt lgkmcnt(0)
	v_lshlrev_b64 v[3:4], 2, v[3:4]
	s_delay_alu instid0(VALU_DEP_1) | instskip(NEXT) | instid1(VALU_DEP_1)
	v_add_co_u32 v3, s31, s54, v3
	v_add_co_ci_u32_e64 v4, s31, s55, v4, s31
	s_delay_alu instid0(VALU_DEP_2) | instskip(NEXT) | instid1(VALU_DEP_1)
	v_add_co_u32 v2, s31, v3, v2
	v_add_co_ci_u32_e64 v3, s31, 0, v4, s31
	global_store_b32 v[2:3], v5, off
.LBB15_121:
	;; [unrolled: 52-line block ×10, first 2 shown]
	s_or_b32 exec_lo, exec_lo, s66
	s_add_u32 s48, s56, s50
	s_addc_u32 s66, s57, 0
	v_add_co_u32 v2, s48, s48, v11
	s_delay_alu instid0(VALU_DEP_1) | instskip(NEXT) | instid1(VALU_DEP_2)
	v_add_co_ci_u32_e64 v3, null, s66, 0, s48
	v_add_co_u32 v2, s48, v2, v10
	s_delay_alu instid0(VALU_DEP_1) | instskip(SKIP_1) | instid1(SALU_CYCLE_1)
	v_add_co_ci_u32_e64 v3, s48, 0, v3, s48
                                        ; implicit-def: $vgpr10
	s_and_saveexec_b32 s48, vcc_lo
	s_xor_b32 s48, exec_lo, s48
	s_cbranch_execnz .LBB15_297
; %bb.154:
	s_or_b32 exec_lo, exec_lo, s48
                                        ; implicit-def: $vgpr45
	s_and_saveexec_b32 s48, s2
	s_cbranch_execnz .LBB15_298
.LBB15_155:
	s_or_b32 exec_lo, exec_lo, s48
                                        ; implicit-def: $vgpr46
	s_and_saveexec_b32 s2, s3
	s_cbranch_execnz .LBB15_299
.LBB15_156:
	s_or_b32 exec_lo, exec_lo, s2
                                        ; implicit-def: $vgpr47
	s_and_saveexec_b32 s2, s4
	s_cbranch_execnz .LBB15_300
.LBB15_157:
	s_or_b32 exec_lo, exec_lo, s2
                                        ; implicit-def: $vgpr48
	s_and_saveexec_b32 s2, s5
	s_cbranch_execnz .LBB15_301
.LBB15_158:
	s_or_b32 exec_lo, exec_lo, s2
                                        ; implicit-def: $vgpr49
	s_and_saveexec_b32 s2, s6
	s_cbranch_execnz .LBB15_302
.LBB15_159:
	s_or_b32 exec_lo, exec_lo, s2
                                        ; implicit-def: $vgpr50
	s_and_saveexec_b32 s2, s7
	s_cbranch_execnz .LBB15_303
.LBB15_160:
	s_or_b32 exec_lo, exec_lo, s2
                                        ; implicit-def: $vgpr51
	s_and_saveexec_b32 s2, s8
	s_cbranch_execnz .LBB15_304
.LBB15_161:
	s_or_b32 exec_lo, exec_lo, s2
                                        ; implicit-def: $vgpr52
	s_and_saveexec_b32 s2, s9
	s_cbranch_execnz .LBB15_305
.LBB15_162:
	s_or_b32 exec_lo, exec_lo, s2
                                        ; implicit-def: $vgpr53
	s_and_saveexec_b32 s2, s10
	s_cbranch_execnz .LBB15_306
.LBB15_163:
	s_or_b32 exec_lo, exec_lo, s2
                                        ; implicit-def: $vgpr54
	s_and_saveexec_b32 s2, s11
	s_cbranch_execnz .LBB15_307
.LBB15_164:
	s_or_b32 exec_lo, exec_lo, s2
                                        ; implicit-def: $vgpr55
	s_and_saveexec_b32 s2, s12
	s_cbranch_execnz .LBB15_308
.LBB15_165:
	s_or_b32 exec_lo, exec_lo, s2
                                        ; implicit-def: $vgpr56
	s_and_saveexec_b32 s2, s13
	s_cbranch_execnz .LBB15_309
.LBB15_166:
	s_or_b32 exec_lo, exec_lo, s2
                                        ; implicit-def: $vgpr58
	s_and_saveexec_b32 s2, s14
	s_cbranch_execnz .LBB15_310
.LBB15_167:
	s_or_b32 exec_lo, exec_lo, s2
                                        ; implicit-def: $vgpr61
	s_and_saveexec_b32 s2, s16
	s_cbranch_execnz .LBB15_311
.LBB15_168:
	s_or_b32 exec_lo, exec_lo, s2
                                        ; implicit-def: $vgpr65
	s_and_saveexec_b32 s2, s17
	s_cbranch_execnz .LBB15_312
.LBB15_169:
	s_or_b32 exec_lo, exec_lo, s2
                                        ; implicit-def: $vgpr68
	s_and_saveexec_b32 s2, s18
	s_cbranch_execnz .LBB15_313
.LBB15_170:
	s_or_b32 exec_lo, exec_lo, s2
                                        ; implicit-def: $vgpr71
	s_and_saveexec_b32 s2, s19
	s_cbranch_execnz .LBB15_314
.LBB15_171:
	s_or_b32 exec_lo, exec_lo, s2
                                        ; implicit-def: $vgpr74
	s_and_saveexec_b32 s2, s20
	s_cbranch_execnz .LBB15_315
.LBB15_172:
	s_or_b32 exec_lo, exec_lo, s2
                                        ; implicit-def: $vgpr77
	s_and_saveexec_b32 s2, s21
	s_cbranch_execnz .LBB15_316
.LBB15_173:
	s_or_b32 exec_lo, exec_lo, s2
                                        ; implicit-def: $vgpr81
	s_and_saveexec_b32 s2, s22
	s_cbranch_execnz .LBB15_317
.LBB15_174:
	s_or_b32 exec_lo, exec_lo, s2
                                        ; implicit-def: $vgpr84
	s_and_saveexec_b32 s2, s23
	s_cbranch_execnz .LBB15_318
.LBB15_175:
	s_or_b32 exec_lo, exec_lo, s2
                                        ; implicit-def: $vgpr85
	s_and_saveexec_b32 s2, s25
	s_cbranch_execnz .LBB15_319
.LBB15_176:
	s_or_b32 exec_lo, exec_lo, s2
                                        ; implicit-def: $vgpr83
	s_and_saveexec_b32 s2, s26
	s_cbranch_execnz .LBB15_320
.LBB15_177:
	s_or_b32 exec_lo, exec_lo, s2
                                        ; implicit-def: $vgpr82
	s_and_saveexec_b32 s2, s27
	s_cbranch_execnz .LBB15_321
.LBB15_178:
	s_or_b32 exec_lo, exec_lo, s2
                                        ; implicit-def: $vgpr80
	s_and_saveexec_b32 s2, s28
	s_cbranch_execnz .LBB15_322
.LBB15_179:
	s_or_b32 exec_lo, exec_lo, s2
                                        ; implicit-def: $vgpr79
	s_and_saveexec_b32 s2, s29
	s_cbranch_execnz .LBB15_323
.LBB15_180:
	s_or_b32 exec_lo, exec_lo, s2
                                        ; implicit-def: $vgpr78
	s_and_saveexec_b32 s2, s30
	s_cbranch_execnz .LBB15_324
.LBB15_181:
	s_or_b32 exec_lo, exec_lo, s2
                                        ; implicit-def: $vgpr76
	s_and_saveexec_b32 s2, s31
	s_cbranch_execnz .LBB15_325
.LBB15_182:
	s_or_b32 exec_lo, exec_lo, s2
                                        ; implicit-def: $vgpr75
	s_and_saveexec_b32 s2, s33
	s_cbranch_execnz .LBB15_326
.LBB15_183:
	s_or_b32 exec_lo, exec_lo, s2
                                        ; implicit-def: $vgpr73
	s_and_saveexec_b32 s2, s34
	s_cbranch_execnz .LBB15_327
.LBB15_184:
	s_or_b32 exec_lo, exec_lo, s2
                                        ; implicit-def: $vgpr72
	s_and_saveexec_b32 s2, s35
	s_cbranch_execnz .LBB15_328
.LBB15_185:
	s_or_b32 exec_lo, exec_lo, s2
                                        ; implicit-def: $vgpr70
	s_and_saveexec_b32 s2, s36
	s_cbranch_execnz .LBB15_329
.LBB15_186:
	s_or_b32 exec_lo, exec_lo, s2
                                        ; implicit-def: $vgpr69
	s_and_saveexec_b32 s2, s37
	s_cbranch_execnz .LBB15_330
.LBB15_187:
	s_or_b32 exec_lo, exec_lo, s2
                                        ; implicit-def: $vgpr67
	s_and_saveexec_b32 s2, s38
	s_cbranch_execnz .LBB15_331
.LBB15_188:
	s_or_b32 exec_lo, exec_lo, s2
                                        ; implicit-def: $vgpr66
	s_and_saveexec_b32 s2, s39
	s_cbranch_execnz .LBB15_332
.LBB15_189:
	s_or_b32 exec_lo, exec_lo, s2
                                        ; implicit-def: $vgpr64
	s_and_saveexec_b32 s2, s40
	s_cbranch_execnz .LBB15_333
.LBB15_190:
	s_or_b32 exec_lo, exec_lo, s2
                                        ; implicit-def: $vgpr63
	s_and_saveexec_b32 s2, s41
	s_cbranch_execnz .LBB15_334
.LBB15_191:
	s_or_b32 exec_lo, exec_lo, s2
                                        ; implicit-def: $vgpr62
	s_and_saveexec_b32 s2, s42
	s_cbranch_execnz .LBB15_335
.LBB15_192:
	s_or_b32 exec_lo, exec_lo, s2
                                        ; implicit-def: $vgpr60
	s_and_saveexec_b32 s2, s43
	s_cbranch_execnz .LBB15_336
.LBB15_193:
	s_or_b32 exec_lo, exec_lo, s2
                                        ; implicit-def: $vgpr59
	s_and_saveexec_b32 s2, s44
	s_cbranch_execnz .LBB15_337
.LBB15_194:
	s_or_b32 exec_lo, exec_lo, s2
                                        ; implicit-def: $vgpr57
	s_and_saveexec_b32 s2, s45
	s_cbranch_execnz .LBB15_338
.LBB15_195:
	s_or_b32 exec_lo, exec_lo, s2
                                        ; implicit-def: $vgpr3
	s_and_saveexec_b32 s2, s46
	s_cbranch_execnz .LBB15_339
.LBB15_196:
	s_or_b32 exec_lo, exec_lo, s2
                                        ; implicit-def: $vgpr2
	s_and_saveexec_b32 s2, s47
	s_cbranch_execz .LBB15_198
.LBB15_197:
	ds_load_b32 v2, v12 offset:45056
	s_waitcnt lgkmcnt(0)
	v_lshrrev_b32_e32 v2, s64, v2
	s_delay_alu instid0(VALU_DEP_1)
	v_and_b32_e32 v2, s51, v2
.LBB15_198:
	s_or_b32 exec_lo, exec_lo, s2
	s_waitcnt vmcnt(0)
	s_waitcnt_vscnt null, 0x0
	s_barrier
	buffer_gl0_inv
	ds_store_b8 v15, v10 offset:2048
	ds_store_b8 v16, v45 offset:2048
	;; [unrolled: 1-line block ×22, first 2 shown]
	s_waitcnt lgkmcnt(0)
	s_barrier
	buffer_gl0_inv
	s_and_saveexec_b32 s2, s25
	s_cbranch_execnz .LBB15_340
; %bb.199:
	s_or_b32 exec_lo, exec_lo, s2
	s_and_saveexec_b32 s2, s26
	s_cbranch_execnz .LBB15_341
.LBB15_200:
	s_or_b32 exec_lo, exec_lo, s2
	s_and_saveexec_b32 s2, s27
	s_cbranch_execnz .LBB15_342
.LBB15_201:
	s_or_b32 exec_lo, exec_lo, s2
	s_and_saveexec_b32 s2, s28
	s_cbranch_execnz .LBB15_343
.LBB15_202:
	s_or_b32 exec_lo, exec_lo, s2
	s_and_saveexec_b32 s2, s29
	s_cbranch_execnz .LBB15_344
.LBB15_203:
	s_or_b32 exec_lo, exec_lo, s2
	s_and_saveexec_b32 s2, s30
	s_cbranch_execnz .LBB15_345
.LBB15_204:
	s_or_b32 exec_lo, exec_lo, s2
	s_and_saveexec_b32 s2, s31
	s_cbranch_execnz .LBB15_346
.LBB15_205:
	s_or_b32 exec_lo, exec_lo, s2
	s_and_saveexec_b32 s2, s33
	s_cbranch_execnz .LBB15_347
.LBB15_206:
	s_or_b32 exec_lo, exec_lo, s2
	s_and_saveexec_b32 s2, s34
	s_cbranch_execnz .LBB15_348
.LBB15_207:
	s_or_b32 exec_lo, exec_lo, s2
	s_and_saveexec_b32 s2, s35
	s_cbranch_execnz .LBB15_349
.LBB15_208:
	s_or_b32 exec_lo, exec_lo, s2
	s_and_saveexec_b32 s2, s36
	s_cbranch_execnz .LBB15_350
.LBB15_209:
	s_or_b32 exec_lo, exec_lo, s2
	s_and_saveexec_b32 s2, s37
	s_cbranch_execnz .LBB15_351
.LBB15_210:
	s_or_b32 exec_lo, exec_lo, s2
	s_and_saveexec_b32 s2, s38
	s_cbranch_execnz .LBB15_352
.LBB15_211:
	s_or_b32 exec_lo, exec_lo, s2
	s_and_saveexec_b32 s2, s39
	s_cbranch_execnz .LBB15_353
.LBB15_212:
	s_or_b32 exec_lo, exec_lo, s2
	s_and_saveexec_b32 s2, s40
	s_cbranch_execnz .LBB15_354
.LBB15_213:
	s_or_b32 exec_lo, exec_lo, s2
	s_and_saveexec_b32 s2, s41
	s_cbranch_execnz .LBB15_355
.LBB15_214:
	s_or_b32 exec_lo, exec_lo, s2
	s_and_saveexec_b32 s2, s42
	s_cbranch_execnz .LBB15_356
.LBB15_215:
	s_or_b32 exec_lo, exec_lo, s2
	s_and_saveexec_b32 s2, s43
	s_cbranch_execnz .LBB15_357
.LBB15_216:
	s_or_b32 exec_lo, exec_lo, s2
	s_and_saveexec_b32 s2, s44
	s_cbranch_execnz .LBB15_358
.LBB15_217:
	s_or_b32 exec_lo, exec_lo, s2
	s_and_saveexec_b32 s2, s45
	s_cbranch_execnz .LBB15_359
.LBB15_218:
	s_or_b32 exec_lo, exec_lo, s2
	s_and_saveexec_b32 s2, s46
	s_cbranch_execnz .LBB15_360
.LBB15_219:
	s_or_b32 exec_lo, exec_lo, s2
	s_and_saveexec_b32 s2, s47
	s_cbranch_execz .LBB15_221
.LBB15_220:
	v_lshlrev_b32_e32 v2, 3, v2
	ds_load_b64 v[2:3], v2
	ds_load_u8 v4, v1 offset:12800
	s_waitcnt lgkmcnt(1)
	v_add_co_u32 v2, vcc_lo, s58, v2
	v_add_co_ci_u32_e32 v3, vcc_lo, s59, v3, vcc_lo
	s_delay_alu instid0(VALU_DEP_2) | instskip(NEXT) | instid1(VALU_DEP_2)
	v_add_co_u32 v2, vcc_lo, v2, v44
	v_add_co_ci_u32_e32 v3, vcc_lo, 0, v3, vcc_lo
	s_waitcnt lgkmcnt(0)
	global_store_b8 v[2:3], v4, off
.LBB15_221:
	s_or_b32 exec_lo, exec_lo, s2
	s_add_i32 s49, s49, -1
	s_mov_b32 s2, 0
	s_cmp_eq_u32 s15, s49
	s_mov_b32 s4, 0
	s_cselect_b32 s3, -1, 0
                                        ; implicit-def: $vgpr5_vgpr6
	s_delay_alu instid0(SALU_CYCLE_1) | instskip(NEXT) | instid1(SALU_CYCLE_1)
	s_and_b32 s3, s24, s3
	s_and_saveexec_b32 s5, s3
	s_delay_alu instid0(SALU_CYCLE_1)
	s_xor_b32 s3, exec_lo, s5
; %bb.222:
	v_add_co_u32 v5, s5, v8, v9
	v_mov_b32_e32 v2, 0
	v_add_co_ci_u32_e64 v6, null, 0, 0, s5
	s_mov_b32 s4, exec_lo
; %bb.223:
	s_or_b32 exec_lo, exec_lo, s3
	s_delay_alu instid0(SALU_CYCLE_1)
	s_and_b32 vcc_lo, exec_lo, s2
	s_cbranch_vccnz .LBB15_225
	s_branch .LBB15_294
.LBB15_224:
	s_mov_b32 s4, 0
                                        ; implicit-def: $vgpr5_vgpr6
	s_cbranch_execz .LBB15_294
.LBB15_225:
	v_dual_mov_b32 v16, 0 :: v_dual_and_b32 v13, 0x1e0, v1
	s_mov_b32 s51, 0
	v_lshlrev_b32_e32 v2, 2, v11
	s_lshl_b64 s[2:3], s[50:51], 2
	s_delay_alu instid0(VALU_DEP_2) | instskip(SKIP_3) | instid1(VALU_DEP_2)
	v_mul_u32_u24_e32 v12, 22, v13
	s_add_u32 s2, s52, s2
	s_addc_u32 s3, s53, s3
	v_add_co_u32 v2, s2, s2, v2
	v_lshlrev_b32_e32 v3, 2, v12
	v_add_co_ci_u32_e64 v4, null, s3, 0, s2
	v_bfe_u32 v15, v0, 10, 10
	v_bfe_u32 v0, v0, 20, 10
	s_delay_alu instid0(VALU_DEP_4) | instskip(NEXT) | instid1(VALU_DEP_4)
	v_add_co_u32 v2, vcc_lo, v2, v3
	v_add_co_ci_u32_e32 v3, vcc_lo, 0, v4, vcc_lo
	global_load_b32 v10, v[2:3], off
	s_clause 0x1
	s_load_b32 s2, s[0:1], 0x5c
	s_load_b32 s5, s[0:1], 0x50
	s_add_u32 s0, s0, 0x50
	s_addc_u32 s1, s1, 0
	s_waitcnt lgkmcnt(0)
	s_lshr_b32 s2, s2, 16
	s_cmp_lt_u32 s15, s5
	v_mad_u32_u24 v0, v0, s2, v15
	s_cselect_b32 s3, 12, 18
	s_delay_alu instid0(SALU_CYCLE_1)
	s_add_u32 s0, s0, s3
	s_addc_u32 s1, s1, 0
	global_load_u16 v14, v16, s[0:1]
	s_clause 0x14
	global_load_b32 v18, v[2:3], off offset:128
	global_load_b32 v17, v[2:3], off offset:256
	;; [unrolled: 1-line block ×21, first 2 shown]
	s_lshl_b32 s0, -1, s65
	s_delay_alu instid0(SALU_CYCLE_1) | instskip(SKIP_2) | instid1(VALU_DEP_1)
	s_not_b32 s6, s0
	s_waitcnt vmcnt(22)
	v_xor_b32_e32 v10, 0x7fffffff, v10
	v_lshrrev_b32_e32 v3, s64, v10
	s_delay_alu instid0(VALU_DEP_1) | instskip(NEXT) | instid1(VALU_DEP_1)
	v_and_b32_e32 v3, s6, v3
	v_and_b32_e32 v19, 1, v3
	v_lshlrev_b32_e32 v20, 30, v3
	v_lshlrev_b32_e32 v22, 29, v3
	;; [unrolled: 1-line block ×4, first 2 shown]
	v_add_co_u32 v19, s0, v19, -1
	s_delay_alu instid0(VALU_DEP_1)
	v_cndmask_b32_e64 v24, 0, 1, s0
	v_not_b32_e32 v30, v20
	v_cmp_gt_i32_e64 s0, 0, v20
	v_not_b32_e32 v20, v22
	v_lshlrev_b32_e32 v27, 26, v3
	v_cmp_ne_u32_e32 vcc_lo, 0, v24
	v_ashrrev_i32_e32 v30, 31, v30
	v_lshlrev_b32_e32 v28, 25, v3
	v_ashrrev_i32_e32 v20, 31, v20
	v_lshlrev_b32_e32 v24, 24, v3
	v_xor_b32_e32 v19, vcc_lo, v19
	v_cmp_gt_i32_e32 vcc_lo, 0, v22
	v_not_b32_e32 v22, v23
	v_xor_b32_e32 v30, s0, v30
	v_cmp_gt_i32_e64 s0, 0, v23
	v_and_b32_e32 v19, exec_lo, v19
	v_not_b32_e32 v23, v26
	v_ashrrev_i32_e32 v22, 31, v22
	v_xor_b32_e32 v20, vcc_lo, v20
	v_cmp_gt_i32_e32 vcc_lo, 0, v26
	v_and_b32_e32 v19, v19, v30
	v_not_b32_e32 v26, v27
	v_ashrrev_i32_e32 v23, 31, v23
	v_xor_b32_e32 v22, s0, v22
	v_cmp_gt_i32_e64 s0, 0, v27
	v_and_b32_e32 v19, v19, v20
	v_not_b32_e32 v20, v28
	v_ashrrev_i32_e32 v26, 31, v26
	v_xor_b32_e32 v23, vcc_lo, v23
	v_cmp_gt_i32_e32 vcc_lo, 0, v28
	v_and_b32_e32 v19, v19, v22
	v_not_b32_e32 v22, v24
	v_ashrrev_i32_e32 v20, 31, v20
	v_xor_b32_e32 v26, s0, v26
	v_cmp_gt_i32_e64 s0, 0, v24
	v_and_b32_e32 v19, v19, v23
	v_ashrrev_i32_e32 v22, 31, v22
	v_xor_b32_e32 v20, vcc_lo, v20
	v_mul_u32_u24_e32 v23, 9, v1
	s_delay_alu instid0(VALU_DEP_4) | instskip(NEXT) | instid1(VALU_DEP_4)
	v_and_b32_e32 v19, v19, v26
	v_xor_b32_e32 v22, s0, v22
	s_delay_alu instid0(VALU_DEP_3)
	v_lshlrev_b32_e32 v15, 2, v23
	ds_store_2addr_b32 v15, v16, v16 offset0:16 offset1:17
	ds_store_2addr_b32 v15, v16, v16 offset0:18 offset1:19
	;; [unrolled: 1-line block ×4, first 2 shown]
	v_and_b32_e32 v24, v19, v20
	s_waitcnt vmcnt(0)
	v_mad_u64_u32 v[19:20], null, v0, v14, v[1:2]
	ds_store_b32 v15, v16 offset:96
	v_lshl_add_u32 v16, v3, 4, v3
	v_and_b32_e32 v0, v24, v22
	s_waitcnt lgkmcnt(0)
	s_waitcnt_vscnt null, 0x0
	s_barrier
	buffer_gl0_inv
	v_lshrrev_b32_e32 v3, 5, v19
	v_mbcnt_lo_u32_b32 v14, v0, 0
	v_cmp_ne_u32_e64 s0, 0, v0
	; wave barrier
	s_delay_alu instid0(VALU_DEP_3) | instskip(NEXT) | instid1(VALU_DEP_3)
	v_add_lshl_u32 v16, v3, v16, 2
	v_cmp_eq_u32_e32 vcc_lo, 0, v14
	s_delay_alu instid0(VALU_DEP_3) | instskip(NEXT) | instid1(SALU_CYCLE_1)
	s_and_b32 s1, s0, vcc_lo
	s_and_saveexec_b32 s0, s1
	s_cbranch_execz .LBB15_227
; %bb.226:
	v_bcnt_u32_b32 v0, v0, 0
	ds_store_b32 v16, v0 offset:64
.LBB15_227:
	s_or_b32 exec_lo, exec_lo, s0
	v_xor_b32_e32 v0, 0x7fffffff, v18
	; wave barrier
	s_delay_alu instid0(VALU_DEP_1) | instskip(NEXT) | instid1(VALU_DEP_1)
	v_lshrrev_b32_e32 v18, s64, v0
	v_and_b32_e32 v18, s6, v18
	s_delay_alu instid0(VALU_DEP_1)
	v_and_b32_e32 v19, 1, v18
	v_lshlrev_b32_e32 v20, 30, v18
	v_lshlrev_b32_e32 v22, 29, v18
	;; [unrolled: 1-line block ×4, first 2 shown]
	v_add_co_u32 v19, s0, v19, -1
	s_delay_alu instid0(VALU_DEP_1)
	v_cndmask_b32_e64 v24, 0, 1, s0
	v_not_b32_e32 v30, v20
	v_cmp_gt_i32_e64 s0, 0, v20
	v_not_b32_e32 v20, v22
	v_lshlrev_b32_e32 v27, 26, v18
	v_cmp_ne_u32_e32 vcc_lo, 0, v24
	v_ashrrev_i32_e32 v30, 31, v30
	v_lshlrev_b32_e32 v28, 25, v18
	v_ashrrev_i32_e32 v20, 31, v20
	v_lshlrev_b32_e32 v24, 24, v18
	v_xor_b32_e32 v19, vcc_lo, v19
	v_cmp_gt_i32_e32 vcc_lo, 0, v22
	v_not_b32_e32 v22, v23
	v_xor_b32_e32 v30, s0, v30
	v_cmp_gt_i32_e64 s0, 0, v23
	v_and_b32_e32 v19, exec_lo, v19
	v_not_b32_e32 v23, v26
	v_ashrrev_i32_e32 v22, 31, v22
	v_xor_b32_e32 v20, vcc_lo, v20
	v_cmp_gt_i32_e32 vcc_lo, 0, v26
	v_and_b32_e32 v19, v19, v30
	v_not_b32_e32 v26, v27
	v_ashrrev_i32_e32 v23, 31, v23
	v_xor_b32_e32 v22, s0, v22
	v_cmp_gt_i32_e64 s0, 0, v27
	v_and_b32_e32 v19, v19, v20
	v_not_b32_e32 v20, v28
	v_ashrrev_i32_e32 v26, 31, v26
	v_xor_b32_e32 v23, vcc_lo, v23
	v_cmp_gt_i32_e32 vcc_lo, 0, v28
	v_and_b32_e32 v19, v19, v22
	v_not_b32_e32 v22, v24
	v_ashrrev_i32_e32 v20, 31, v20
	v_xor_b32_e32 v26, s0, v26
	v_lshl_add_u32 v18, v18, 4, v18
	v_and_b32_e32 v19, v19, v23
	v_cmp_gt_i32_e64 s0, 0, v24
	v_ashrrev_i32_e32 v22, 31, v22
	v_xor_b32_e32 v23, vcc_lo, v20
	v_add_lshl_u32 v20, v3, v18, 2
	v_and_b32_e32 v19, v19, v26
	s_delay_alu instid0(VALU_DEP_4) | instskip(SKIP_2) | instid1(VALU_DEP_1)
	v_xor_b32_e32 v22, s0, v22
	ds_load_b32 v18, v20 offset:64
	v_and_b32_e32 v19, v19, v23
	; wave barrier
	v_and_b32_e32 v22, v19, v22
	s_delay_alu instid0(VALU_DEP_1) | instskip(SKIP_1) | instid1(VALU_DEP_2)
	v_mbcnt_lo_u32_b32 v19, v22, 0
	v_cmp_ne_u32_e64 s0, 0, v22
	v_cmp_eq_u32_e32 vcc_lo, 0, v19
	s_delay_alu instid0(VALU_DEP_2) | instskip(NEXT) | instid1(SALU_CYCLE_1)
	s_and_b32 s1, s0, vcc_lo
	s_and_saveexec_b32 s0, s1
	s_cbranch_execz .LBB15_229
; %bb.228:
	s_waitcnt lgkmcnt(0)
	v_bcnt_u32_b32 v22, v22, v18
	ds_store_b32 v20, v22 offset:64
.LBB15_229:
	s_or_b32 exec_lo, exec_lo, s0
	v_xor_b32_e32 v17, 0x7fffffff, v17
	; wave barrier
	s_delay_alu instid0(VALU_DEP_1) | instskip(NEXT) | instid1(VALU_DEP_1)
	v_lshrrev_b32_e32 v22, s64, v17
	v_and_b32_e32 v22, s6, v22
	s_delay_alu instid0(VALU_DEP_1)
	v_and_b32_e32 v23, 1, v22
	v_lshlrev_b32_e32 v24, 30, v22
	v_lshlrev_b32_e32 v26, 29, v22
	;; [unrolled: 1-line block ×4, first 2 shown]
	v_add_co_u32 v23, s0, v23, -1
	s_delay_alu instid0(VALU_DEP_1)
	v_cndmask_b32_e64 v28, 0, 1, s0
	v_not_b32_e32 v34, v24
	v_cmp_gt_i32_e64 s0, 0, v24
	v_not_b32_e32 v24, v26
	v_lshlrev_b32_e32 v31, 26, v22
	v_cmp_ne_u32_e32 vcc_lo, 0, v28
	v_ashrrev_i32_e32 v34, 31, v34
	v_lshlrev_b32_e32 v32, 25, v22
	v_ashrrev_i32_e32 v24, 31, v24
	v_lshlrev_b32_e32 v28, 24, v22
	v_xor_b32_e32 v23, vcc_lo, v23
	v_cmp_gt_i32_e32 vcc_lo, 0, v26
	v_not_b32_e32 v26, v27
	v_xor_b32_e32 v34, s0, v34
	v_cmp_gt_i32_e64 s0, 0, v27
	v_and_b32_e32 v23, exec_lo, v23
	v_not_b32_e32 v27, v30
	v_ashrrev_i32_e32 v26, 31, v26
	v_xor_b32_e32 v24, vcc_lo, v24
	v_cmp_gt_i32_e32 vcc_lo, 0, v30
	v_and_b32_e32 v23, v23, v34
	v_not_b32_e32 v30, v31
	v_ashrrev_i32_e32 v27, 31, v27
	v_xor_b32_e32 v26, s0, v26
	v_cmp_gt_i32_e64 s0, 0, v31
	v_and_b32_e32 v23, v23, v24
	v_not_b32_e32 v24, v32
	v_ashrrev_i32_e32 v30, 31, v30
	v_xor_b32_e32 v27, vcc_lo, v27
	v_cmp_gt_i32_e32 vcc_lo, 0, v32
	v_and_b32_e32 v23, v23, v26
	v_not_b32_e32 v26, v28
	v_ashrrev_i32_e32 v24, 31, v24
	v_xor_b32_e32 v30, s0, v30
	v_lshl_add_u32 v22, v22, 4, v22
	v_and_b32_e32 v23, v23, v27
	v_cmp_gt_i32_e64 s0, 0, v28
	v_ashrrev_i32_e32 v26, 31, v26
	v_xor_b32_e32 v27, vcc_lo, v24
	v_add_lshl_u32 v24, v3, v22, 2
	v_and_b32_e32 v23, v23, v30
	s_delay_alu instid0(VALU_DEP_4) | instskip(SKIP_2) | instid1(VALU_DEP_1)
	v_xor_b32_e32 v26, s0, v26
	ds_load_b32 v22, v24 offset:64
	v_and_b32_e32 v23, v23, v27
	; wave barrier
	v_and_b32_e32 v26, v23, v26
	s_delay_alu instid0(VALU_DEP_1) | instskip(SKIP_1) | instid1(VALU_DEP_2)
	v_mbcnt_lo_u32_b32 v23, v26, 0
	v_cmp_ne_u32_e64 s0, 0, v26
	v_cmp_eq_u32_e32 vcc_lo, 0, v23
	s_delay_alu instid0(VALU_DEP_2) | instskip(NEXT) | instid1(SALU_CYCLE_1)
	s_and_b32 s1, s0, vcc_lo
	s_and_saveexec_b32 s0, s1
	s_cbranch_execz .LBB15_231
; %bb.230:
	s_waitcnt lgkmcnt(0)
	v_bcnt_u32_b32 v26, v26, v22
	ds_store_b32 v24, v26 offset:64
.LBB15_231:
	s_or_b32 exec_lo, exec_lo, s0
	v_xor_b32_e32 v21, 0x7fffffff, v21
	; wave barrier
	s_delay_alu instid0(VALU_DEP_1) | instskip(NEXT) | instid1(VALU_DEP_1)
	v_lshrrev_b32_e32 v26, s64, v21
	v_and_b32_e32 v26, s6, v26
	s_delay_alu instid0(VALU_DEP_1)
	v_and_b32_e32 v27, 1, v26
	v_lshlrev_b32_e32 v28, 30, v26
	v_lshlrev_b32_e32 v30, 29, v26
	;; [unrolled: 1-line block ×4, first 2 shown]
	v_add_co_u32 v27, s0, v27, -1
	s_delay_alu instid0(VALU_DEP_1)
	v_cndmask_b32_e64 v32, 0, 1, s0
	v_not_b32_e32 v38, v28
	v_cmp_gt_i32_e64 s0, 0, v28
	v_not_b32_e32 v28, v30
	v_lshlrev_b32_e32 v35, 26, v26
	v_cmp_ne_u32_e32 vcc_lo, 0, v32
	v_ashrrev_i32_e32 v38, 31, v38
	v_lshlrev_b32_e32 v36, 25, v26
	v_ashrrev_i32_e32 v28, 31, v28
	v_lshlrev_b32_e32 v32, 24, v26
	v_xor_b32_e32 v27, vcc_lo, v27
	v_cmp_gt_i32_e32 vcc_lo, 0, v30
	v_not_b32_e32 v30, v31
	v_xor_b32_e32 v38, s0, v38
	v_cmp_gt_i32_e64 s0, 0, v31
	v_and_b32_e32 v27, exec_lo, v27
	v_not_b32_e32 v31, v34
	v_ashrrev_i32_e32 v30, 31, v30
	v_xor_b32_e32 v28, vcc_lo, v28
	v_cmp_gt_i32_e32 vcc_lo, 0, v34
	v_and_b32_e32 v27, v27, v38
	v_not_b32_e32 v34, v35
	v_ashrrev_i32_e32 v31, 31, v31
	v_xor_b32_e32 v30, s0, v30
	v_cmp_gt_i32_e64 s0, 0, v35
	v_and_b32_e32 v27, v27, v28
	v_not_b32_e32 v28, v36
	v_ashrrev_i32_e32 v34, 31, v34
	v_xor_b32_e32 v31, vcc_lo, v31
	v_cmp_gt_i32_e32 vcc_lo, 0, v36
	v_and_b32_e32 v27, v27, v30
	v_not_b32_e32 v30, v32
	v_ashrrev_i32_e32 v28, 31, v28
	v_xor_b32_e32 v34, s0, v34
	v_lshl_add_u32 v26, v26, 4, v26
	v_and_b32_e32 v27, v27, v31
	v_cmp_gt_i32_e64 s0, 0, v32
	v_ashrrev_i32_e32 v30, 31, v30
	v_xor_b32_e32 v31, vcc_lo, v28
	v_add_lshl_u32 v28, v3, v26, 2
	v_and_b32_e32 v27, v27, v34
	s_delay_alu instid0(VALU_DEP_4) | instskip(SKIP_2) | instid1(VALU_DEP_1)
	v_xor_b32_e32 v30, s0, v30
	ds_load_b32 v26, v28 offset:64
	v_and_b32_e32 v27, v27, v31
	; wave barrier
	v_and_b32_e32 v30, v27, v30
	s_delay_alu instid0(VALU_DEP_1) | instskip(SKIP_1) | instid1(VALU_DEP_2)
	v_mbcnt_lo_u32_b32 v27, v30, 0
	v_cmp_ne_u32_e64 s0, 0, v30
	v_cmp_eq_u32_e32 vcc_lo, 0, v27
	s_delay_alu instid0(VALU_DEP_2) | instskip(NEXT) | instid1(SALU_CYCLE_1)
	s_and_b32 s1, s0, vcc_lo
	s_and_saveexec_b32 s0, s1
	s_cbranch_execz .LBB15_233
; %bb.232:
	s_waitcnt lgkmcnt(0)
	v_bcnt_u32_b32 v30, v30, v26
	ds_store_b32 v28, v30 offset:64
.LBB15_233:
	s_or_b32 exec_lo, exec_lo, s0
	v_xor_b32_e32 v25, 0x7fffffff, v25
	; wave barrier
	s_delay_alu instid0(VALU_DEP_1) | instskip(NEXT) | instid1(VALU_DEP_1)
	v_lshrrev_b32_e32 v30, s64, v25
	v_and_b32_e32 v30, s6, v30
	s_delay_alu instid0(VALU_DEP_1)
	v_and_b32_e32 v31, 1, v30
	v_lshlrev_b32_e32 v32, 30, v30
	v_lshlrev_b32_e32 v34, 29, v30
	;; [unrolled: 1-line block ×4, first 2 shown]
	v_add_co_u32 v31, s0, v31, -1
	s_delay_alu instid0(VALU_DEP_1)
	v_cndmask_b32_e64 v36, 0, 1, s0
	v_not_b32_e32 v42, v32
	v_cmp_gt_i32_e64 s0, 0, v32
	v_not_b32_e32 v32, v34
	v_lshlrev_b32_e32 v39, 26, v30
	v_cmp_ne_u32_e32 vcc_lo, 0, v36
	v_ashrrev_i32_e32 v42, 31, v42
	v_lshlrev_b32_e32 v40, 25, v30
	v_ashrrev_i32_e32 v32, 31, v32
	v_lshlrev_b32_e32 v36, 24, v30
	v_xor_b32_e32 v31, vcc_lo, v31
	v_cmp_gt_i32_e32 vcc_lo, 0, v34
	v_not_b32_e32 v34, v35
	v_xor_b32_e32 v42, s0, v42
	v_cmp_gt_i32_e64 s0, 0, v35
	v_and_b32_e32 v31, exec_lo, v31
	v_not_b32_e32 v35, v38
	v_ashrrev_i32_e32 v34, 31, v34
	v_xor_b32_e32 v32, vcc_lo, v32
	v_cmp_gt_i32_e32 vcc_lo, 0, v38
	v_and_b32_e32 v31, v31, v42
	v_not_b32_e32 v38, v39
	v_ashrrev_i32_e32 v35, 31, v35
	v_xor_b32_e32 v34, s0, v34
	v_cmp_gt_i32_e64 s0, 0, v39
	v_and_b32_e32 v31, v31, v32
	v_not_b32_e32 v32, v40
	v_ashrrev_i32_e32 v38, 31, v38
	v_xor_b32_e32 v35, vcc_lo, v35
	v_cmp_gt_i32_e32 vcc_lo, 0, v40
	v_and_b32_e32 v31, v31, v34
	v_not_b32_e32 v34, v36
	v_ashrrev_i32_e32 v32, 31, v32
	v_xor_b32_e32 v38, s0, v38
	v_lshl_add_u32 v30, v30, 4, v30
	v_and_b32_e32 v31, v31, v35
	v_cmp_gt_i32_e64 s0, 0, v36
	v_ashrrev_i32_e32 v34, 31, v34
	v_xor_b32_e32 v35, vcc_lo, v32
	v_add_lshl_u32 v32, v3, v30, 2
	v_and_b32_e32 v31, v31, v38
	s_delay_alu instid0(VALU_DEP_4) | instskip(SKIP_2) | instid1(VALU_DEP_1)
	v_xor_b32_e32 v34, s0, v34
	ds_load_b32 v30, v32 offset:64
	v_and_b32_e32 v31, v31, v35
	; wave barrier
	v_and_b32_e32 v34, v31, v34
	s_delay_alu instid0(VALU_DEP_1) | instskip(SKIP_1) | instid1(VALU_DEP_2)
	v_mbcnt_lo_u32_b32 v31, v34, 0
	v_cmp_ne_u32_e64 s0, 0, v34
	v_cmp_eq_u32_e32 vcc_lo, 0, v31
	s_delay_alu instid0(VALU_DEP_2) | instskip(NEXT) | instid1(SALU_CYCLE_1)
	s_and_b32 s1, s0, vcc_lo
	s_and_saveexec_b32 s0, s1
	s_cbranch_execz .LBB15_235
; %bb.234:
	s_waitcnt lgkmcnt(0)
	v_bcnt_u32_b32 v34, v34, v30
	ds_store_b32 v32, v34 offset:64
.LBB15_235:
	s_or_b32 exec_lo, exec_lo, s0
	v_xor_b32_e32 v29, 0x7fffffff, v29
	; wave barrier
	s_delay_alu instid0(VALU_DEP_1) | instskip(NEXT) | instid1(VALU_DEP_1)
	v_lshrrev_b32_e32 v34, s64, v29
	v_and_b32_e32 v34, s6, v34
	s_delay_alu instid0(VALU_DEP_1)
	v_and_b32_e32 v35, 1, v34
	v_lshlrev_b32_e32 v36, 30, v34
	v_lshlrev_b32_e32 v38, 29, v34
	;; [unrolled: 1-line block ×4, first 2 shown]
	v_add_co_u32 v35, s0, v35, -1
	s_delay_alu instid0(VALU_DEP_1)
	v_cndmask_b32_e64 v40, 0, 1, s0
	v_not_b32_e32 v46, v36
	v_cmp_gt_i32_e64 s0, 0, v36
	v_not_b32_e32 v36, v38
	v_lshlrev_b32_e32 v43, 26, v34
	v_cmp_ne_u32_e32 vcc_lo, 0, v40
	v_ashrrev_i32_e32 v46, 31, v46
	v_lshlrev_b32_e32 v44, 25, v34
	v_ashrrev_i32_e32 v36, 31, v36
	v_lshlrev_b32_e32 v40, 24, v34
	v_xor_b32_e32 v35, vcc_lo, v35
	v_cmp_gt_i32_e32 vcc_lo, 0, v38
	v_not_b32_e32 v38, v39
	v_xor_b32_e32 v46, s0, v46
	v_cmp_gt_i32_e64 s0, 0, v39
	v_and_b32_e32 v35, exec_lo, v35
	v_not_b32_e32 v39, v42
	v_ashrrev_i32_e32 v38, 31, v38
	v_xor_b32_e32 v36, vcc_lo, v36
	v_cmp_gt_i32_e32 vcc_lo, 0, v42
	v_and_b32_e32 v35, v35, v46
	v_not_b32_e32 v42, v43
	v_ashrrev_i32_e32 v39, 31, v39
	v_xor_b32_e32 v38, s0, v38
	v_cmp_gt_i32_e64 s0, 0, v43
	v_and_b32_e32 v35, v35, v36
	v_not_b32_e32 v36, v44
	v_ashrrev_i32_e32 v42, 31, v42
	v_xor_b32_e32 v39, vcc_lo, v39
	v_cmp_gt_i32_e32 vcc_lo, 0, v44
	v_and_b32_e32 v35, v35, v38
	v_not_b32_e32 v38, v40
	v_ashrrev_i32_e32 v36, 31, v36
	v_xor_b32_e32 v42, s0, v42
	v_lshl_add_u32 v34, v34, 4, v34
	v_and_b32_e32 v35, v35, v39
	v_cmp_gt_i32_e64 s0, 0, v40
	v_ashrrev_i32_e32 v38, 31, v38
	v_xor_b32_e32 v39, vcc_lo, v36
	v_add_lshl_u32 v36, v3, v34, 2
	v_and_b32_e32 v35, v35, v42
	s_delay_alu instid0(VALU_DEP_4) | instskip(SKIP_2) | instid1(VALU_DEP_1)
	v_xor_b32_e32 v38, s0, v38
	ds_load_b32 v34, v36 offset:64
	v_and_b32_e32 v35, v35, v39
	; wave barrier
	v_and_b32_e32 v38, v35, v38
	s_delay_alu instid0(VALU_DEP_1) | instskip(SKIP_1) | instid1(VALU_DEP_2)
	v_mbcnt_lo_u32_b32 v35, v38, 0
	v_cmp_ne_u32_e64 s0, 0, v38
	v_cmp_eq_u32_e32 vcc_lo, 0, v35
	s_delay_alu instid0(VALU_DEP_2) | instskip(NEXT) | instid1(SALU_CYCLE_1)
	s_and_b32 s1, s0, vcc_lo
	s_and_saveexec_b32 s0, s1
	s_cbranch_execz .LBB15_237
; %bb.236:
	s_waitcnt lgkmcnt(0)
	v_bcnt_u32_b32 v38, v38, v34
	ds_store_b32 v36, v38 offset:64
.LBB15_237:
	s_or_b32 exec_lo, exec_lo, s0
	v_xor_b32_e32 v33, 0x7fffffff, v33
	; wave barrier
	s_delay_alu instid0(VALU_DEP_1) | instskip(NEXT) | instid1(VALU_DEP_1)
	v_lshrrev_b32_e32 v38, s64, v33
	v_and_b32_e32 v38, s6, v38
	s_delay_alu instid0(VALU_DEP_1)
	v_and_b32_e32 v39, 1, v38
	v_lshlrev_b32_e32 v40, 30, v38
	v_lshlrev_b32_e32 v42, 29, v38
	;; [unrolled: 1-line block ×4, first 2 shown]
	v_add_co_u32 v39, s0, v39, -1
	s_delay_alu instid0(VALU_DEP_1)
	v_cndmask_b32_e64 v44, 0, 1, s0
	v_not_b32_e32 v51, v40
	v_cmp_gt_i32_e64 s0, 0, v40
	v_not_b32_e32 v40, v42
	v_lshlrev_b32_e32 v47, 26, v38
	v_cmp_ne_u32_e32 vcc_lo, 0, v44
	v_ashrrev_i32_e32 v51, 31, v51
	v_lshlrev_b32_e32 v48, 25, v38
	v_ashrrev_i32_e32 v40, 31, v40
	v_lshlrev_b32_e32 v44, 24, v38
	v_xor_b32_e32 v39, vcc_lo, v39
	v_cmp_gt_i32_e32 vcc_lo, 0, v42
	v_not_b32_e32 v42, v43
	v_xor_b32_e32 v51, s0, v51
	v_cmp_gt_i32_e64 s0, 0, v43
	v_and_b32_e32 v39, exec_lo, v39
	v_not_b32_e32 v43, v46
	v_ashrrev_i32_e32 v42, 31, v42
	v_xor_b32_e32 v40, vcc_lo, v40
	v_cmp_gt_i32_e32 vcc_lo, 0, v46
	v_and_b32_e32 v39, v39, v51
	v_not_b32_e32 v46, v47
	v_ashrrev_i32_e32 v43, 31, v43
	v_xor_b32_e32 v42, s0, v42
	v_cmp_gt_i32_e64 s0, 0, v47
	v_and_b32_e32 v39, v39, v40
	v_not_b32_e32 v40, v48
	v_ashrrev_i32_e32 v46, 31, v46
	v_xor_b32_e32 v43, vcc_lo, v43
	v_cmp_gt_i32_e32 vcc_lo, 0, v48
	v_and_b32_e32 v39, v39, v42
	v_not_b32_e32 v42, v44
	v_ashrrev_i32_e32 v40, 31, v40
	v_xor_b32_e32 v46, s0, v46
	v_lshl_add_u32 v38, v38, 4, v38
	v_and_b32_e32 v39, v39, v43
	v_cmp_gt_i32_e64 s0, 0, v44
	v_ashrrev_i32_e32 v42, 31, v42
	v_xor_b32_e32 v43, vcc_lo, v40
	v_add_lshl_u32 v40, v3, v38, 2
	v_and_b32_e32 v39, v39, v46
	s_delay_alu instid0(VALU_DEP_4) | instskip(SKIP_2) | instid1(VALU_DEP_1)
	v_xor_b32_e32 v42, s0, v42
	ds_load_b32 v38, v40 offset:64
	v_and_b32_e32 v39, v39, v43
	; wave barrier
	v_and_b32_e32 v42, v39, v42
	s_delay_alu instid0(VALU_DEP_1) | instskip(SKIP_1) | instid1(VALU_DEP_2)
	v_mbcnt_lo_u32_b32 v39, v42, 0
	v_cmp_ne_u32_e64 s0, 0, v42
	v_cmp_eq_u32_e32 vcc_lo, 0, v39
	s_delay_alu instid0(VALU_DEP_2) | instskip(NEXT) | instid1(SALU_CYCLE_1)
	s_and_b32 s1, s0, vcc_lo
	s_and_saveexec_b32 s0, s1
	s_cbranch_execz .LBB15_239
; %bb.238:
	s_waitcnt lgkmcnt(0)
	v_bcnt_u32_b32 v42, v42, v38
	ds_store_b32 v40, v42 offset:64
.LBB15_239:
	s_or_b32 exec_lo, exec_lo, s0
	v_xor_b32_e32 v37, 0x7fffffff, v37
	; wave barrier
	s_delay_alu instid0(VALU_DEP_1) | instskip(NEXT) | instid1(VALU_DEP_1)
	v_lshrrev_b32_e32 v42, s64, v37
	v_and_b32_e32 v42, s6, v42
	s_delay_alu instid0(VALU_DEP_1)
	v_and_b32_e32 v43, 1, v42
	v_lshlrev_b32_e32 v44, 30, v42
	v_lshlrev_b32_e32 v46, 29, v42
	;; [unrolled: 1-line block ×4, first 2 shown]
	v_add_co_u32 v43, s0, v43, -1
	s_delay_alu instid0(VALU_DEP_1)
	v_cndmask_b32_e64 v48, 0, 1, s0
	v_not_b32_e32 v56, v44
	v_cmp_gt_i32_e64 s0, 0, v44
	v_not_b32_e32 v44, v46
	v_lshlrev_b32_e32 v52, 26, v42
	v_cmp_ne_u32_e32 vcc_lo, 0, v48
	v_ashrrev_i32_e32 v56, 31, v56
	v_lshlrev_b32_e32 v53, 25, v42
	v_ashrrev_i32_e32 v44, 31, v44
	v_lshlrev_b32_e32 v48, 24, v42
	v_xor_b32_e32 v43, vcc_lo, v43
	v_cmp_gt_i32_e32 vcc_lo, 0, v46
	v_not_b32_e32 v46, v47
	v_xor_b32_e32 v56, s0, v56
	v_cmp_gt_i32_e64 s0, 0, v47
	v_and_b32_e32 v43, exec_lo, v43
	v_not_b32_e32 v47, v51
	v_ashrrev_i32_e32 v46, 31, v46
	v_xor_b32_e32 v44, vcc_lo, v44
	v_cmp_gt_i32_e32 vcc_lo, 0, v51
	v_and_b32_e32 v43, v43, v56
	v_not_b32_e32 v51, v52
	v_ashrrev_i32_e32 v47, 31, v47
	v_xor_b32_e32 v46, s0, v46
	v_cmp_gt_i32_e64 s0, 0, v52
	v_and_b32_e32 v43, v43, v44
	v_not_b32_e32 v44, v53
	v_ashrrev_i32_e32 v51, 31, v51
	v_xor_b32_e32 v47, vcc_lo, v47
	v_cmp_gt_i32_e32 vcc_lo, 0, v53
	v_and_b32_e32 v43, v43, v46
	v_not_b32_e32 v46, v48
	v_ashrrev_i32_e32 v44, 31, v44
	v_xor_b32_e32 v51, s0, v51
	v_lshl_add_u32 v42, v42, 4, v42
	v_and_b32_e32 v43, v43, v47
	v_cmp_gt_i32_e64 s0, 0, v48
	v_ashrrev_i32_e32 v46, 31, v46
	v_xor_b32_e32 v47, vcc_lo, v44
	v_add_lshl_u32 v44, v3, v42, 2
	v_and_b32_e32 v43, v43, v51
	s_delay_alu instid0(VALU_DEP_4) | instskip(SKIP_2) | instid1(VALU_DEP_1)
	v_xor_b32_e32 v46, s0, v46
	ds_load_b32 v42, v44 offset:64
	v_and_b32_e32 v43, v43, v47
	; wave barrier
	v_and_b32_e32 v46, v43, v46
	s_delay_alu instid0(VALU_DEP_1) | instskip(SKIP_1) | instid1(VALU_DEP_2)
	v_mbcnt_lo_u32_b32 v43, v46, 0
	v_cmp_ne_u32_e64 s0, 0, v46
	v_cmp_eq_u32_e32 vcc_lo, 0, v43
	s_delay_alu instid0(VALU_DEP_2) | instskip(NEXT) | instid1(SALU_CYCLE_1)
	s_and_b32 s1, s0, vcc_lo
	s_and_saveexec_b32 s0, s1
	s_cbranch_execz .LBB15_241
; %bb.240:
	s_waitcnt lgkmcnt(0)
	v_bcnt_u32_b32 v46, v46, v42
	ds_store_b32 v44, v46 offset:64
.LBB15_241:
	s_or_b32 exec_lo, exec_lo, s0
	v_xor_b32_e32 v41, 0x7fffffff, v41
	; wave barrier
	s_delay_alu instid0(VALU_DEP_1) | instskip(NEXT) | instid1(VALU_DEP_1)
	v_lshrrev_b32_e32 v46, s64, v41
	v_and_b32_e32 v46, s6, v46
	s_delay_alu instid0(VALU_DEP_1)
	v_and_b32_e32 v47, 1, v46
	v_lshlrev_b32_e32 v48, 30, v46
	v_lshlrev_b32_e32 v51, 29, v46
	;; [unrolled: 1-line block ×4, first 2 shown]
	v_add_co_u32 v47, s0, v47, -1
	s_delay_alu instid0(VALU_DEP_1)
	v_cndmask_b32_e64 v53, 0, 1, s0
	v_not_b32_e32 v60, v48
	v_cmp_gt_i32_e64 s0, 0, v48
	v_not_b32_e32 v48, v51
	v_lshlrev_b32_e32 v57, 26, v46
	v_cmp_ne_u32_e32 vcc_lo, 0, v53
	v_ashrrev_i32_e32 v60, 31, v60
	v_lshlrev_b32_e32 v58, 25, v46
	v_ashrrev_i32_e32 v48, 31, v48
	v_lshlrev_b32_e32 v53, 24, v46
	v_xor_b32_e32 v47, vcc_lo, v47
	v_cmp_gt_i32_e32 vcc_lo, 0, v51
	v_not_b32_e32 v51, v52
	v_xor_b32_e32 v60, s0, v60
	v_cmp_gt_i32_e64 s0, 0, v52
	v_and_b32_e32 v47, exec_lo, v47
	v_not_b32_e32 v52, v56
	v_ashrrev_i32_e32 v51, 31, v51
	v_xor_b32_e32 v48, vcc_lo, v48
	v_cmp_gt_i32_e32 vcc_lo, 0, v56
	v_and_b32_e32 v47, v47, v60
	v_not_b32_e32 v56, v57
	v_ashrrev_i32_e32 v52, 31, v52
	v_xor_b32_e32 v51, s0, v51
	v_cmp_gt_i32_e64 s0, 0, v57
	v_and_b32_e32 v47, v47, v48
	v_not_b32_e32 v48, v58
	v_ashrrev_i32_e32 v56, 31, v56
	v_xor_b32_e32 v52, vcc_lo, v52
	v_cmp_gt_i32_e32 vcc_lo, 0, v58
	v_and_b32_e32 v47, v47, v51
	v_not_b32_e32 v51, v53
	v_ashrrev_i32_e32 v48, 31, v48
	v_xor_b32_e32 v56, s0, v56
	v_lshl_add_u32 v46, v46, 4, v46
	v_and_b32_e32 v47, v47, v52
	v_cmp_gt_i32_e64 s0, 0, v53
	v_ashrrev_i32_e32 v51, 31, v51
	v_xor_b32_e32 v52, vcc_lo, v48
	v_add_lshl_u32 v48, v3, v46, 2
	v_and_b32_e32 v47, v47, v56
	s_delay_alu instid0(VALU_DEP_4) | instskip(SKIP_2) | instid1(VALU_DEP_1)
	v_xor_b32_e32 v51, s0, v51
	ds_load_b32 v46, v48 offset:64
	v_and_b32_e32 v47, v47, v52
	; wave barrier
	v_and_b32_e32 v51, v47, v51
	s_delay_alu instid0(VALU_DEP_1) | instskip(SKIP_1) | instid1(VALU_DEP_2)
	v_mbcnt_lo_u32_b32 v47, v51, 0
	v_cmp_ne_u32_e64 s0, 0, v51
	v_cmp_eq_u32_e32 vcc_lo, 0, v47
	s_delay_alu instid0(VALU_DEP_2) | instskip(NEXT) | instid1(SALU_CYCLE_1)
	s_and_b32 s1, s0, vcc_lo
	s_and_saveexec_b32 s0, s1
	s_cbranch_execz .LBB15_243
; %bb.242:
	s_waitcnt lgkmcnt(0)
	v_bcnt_u32_b32 v51, v51, v46
	ds_store_b32 v48, v51 offset:64
.LBB15_243:
	s_or_b32 exec_lo, exec_lo, s0
	v_xor_b32_e32 v45, 0x7fffffff, v45
	; wave barrier
	s_delay_alu instid0(VALU_DEP_1) | instskip(NEXT) | instid1(VALU_DEP_1)
	v_lshrrev_b32_e32 v51, s64, v45
	v_and_b32_e32 v51, s6, v51
	s_delay_alu instid0(VALU_DEP_1)
	v_and_b32_e32 v52, 1, v51
	v_lshlrev_b32_e32 v53, 30, v51
	v_lshlrev_b32_e32 v56, 29, v51
	;; [unrolled: 1-line block ×4, first 2 shown]
	v_add_co_u32 v52, s0, v52, -1
	s_delay_alu instid0(VALU_DEP_1)
	v_cndmask_b32_e64 v58, 0, 1, s0
	v_not_b32_e32 v63, v53
	v_cmp_gt_i32_e64 s0, 0, v53
	v_not_b32_e32 v53, v56
	v_lshlrev_b32_e32 v61, 26, v51
	v_cmp_ne_u32_e32 vcc_lo, 0, v58
	v_ashrrev_i32_e32 v63, 31, v63
	v_lshlrev_b32_e32 v62, 25, v51
	v_ashrrev_i32_e32 v53, 31, v53
	v_lshlrev_b32_e32 v58, 24, v51
	v_xor_b32_e32 v52, vcc_lo, v52
	v_cmp_gt_i32_e32 vcc_lo, 0, v56
	v_not_b32_e32 v56, v57
	v_xor_b32_e32 v63, s0, v63
	v_cmp_gt_i32_e64 s0, 0, v57
	v_and_b32_e32 v52, exec_lo, v52
	v_not_b32_e32 v57, v60
	v_ashrrev_i32_e32 v56, 31, v56
	v_xor_b32_e32 v53, vcc_lo, v53
	v_cmp_gt_i32_e32 vcc_lo, 0, v60
	v_and_b32_e32 v52, v52, v63
	v_not_b32_e32 v60, v61
	v_ashrrev_i32_e32 v57, 31, v57
	v_xor_b32_e32 v56, s0, v56
	v_cmp_gt_i32_e64 s0, 0, v61
	v_and_b32_e32 v52, v52, v53
	v_not_b32_e32 v53, v62
	v_ashrrev_i32_e32 v60, 31, v60
	v_xor_b32_e32 v57, vcc_lo, v57
	v_cmp_gt_i32_e32 vcc_lo, 0, v62
	v_and_b32_e32 v52, v52, v56
	v_not_b32_e32 v56, v58
	v_ashrrev_i32_e32 v53, 31, v53
	v_xor_b32_e32 v60, s0, v60
	v_lshl_add_u32 v51, v51, 4, v51
	v_and_b32_e32 v52, v52, v57
	v_cmp_gt_i32_e64 s0, 0, v58
	v_ashrrev_i32_e32 v56, 31, v56
	v_xor_b32_e32 v57, vcc_lo, v53
	v_add_lshl_u32 v53, v3, v51, 2
	v_and_b32_e32 v52, v52, v60
	s_delay_alu instid0(VALU_DEP_4) | instskip(SKIP_2) | instid1(VALU_DEP_1)
	v_xor_b32_e32 v56, s0, v56
	ds_load_b32 v51, v53 offset:64
	v_and_b32_e32 v52, v52, v57
	; wave barrier
	v_and_b32_e32 v56, v52, v56
	s_delay_alu instid0(VALU_DEP_1) | instskip(SKIP_1) | instid1(VALU_DEP_2)
	v_mbcnt_lo_u32_b32 v52, v56, 0
	v_cmp_ne_u32_e64 s0, 0, v56
	v_cmp_eq_u32_e32 vcc_lo, 0, v52
	s_delay_alu instid0(VALU_DEP_2) | instskip(NEXT) | instid1(SALU_CYCLE_1)
	s_and_b32 s1, s0, vcc_lo
	s_and_saveexec_b32 s0, s1
	s_cbranch_execz .LBB15_245
; %bb.244:
	s_waitcnt lgkmcnt(0)
	v_bcnt_u32_b32 v56, v56, v51
	ds_store_b32 v53, v56 offset:64
.LBB15_245:
	s_or_b32 exec_lo, exec_lo, s0
	v_xor_b32_e32 v50, 0x7fffffff, v50
	; wave barrier
	s_delay_alu instid0(VALU_DEP_1) | instskip(NEXT) | instid1(VALU_DEP_1)
	v_lshrrev_b32_e32 v56, s64, v50
	v_and_b32_e32 v56, s6, v56
	s_delay_alu instid0(VALU_DEP_1)
	v_and_b32_e32 v57, 1, v56
	v_lshlrev_b32_e32 v58, 30, v56
	v_lshlrev_b32_e32 v60, 29, v56
	;; [unrolled: 1-line block ×4, first 2 shown]
	v_add_co_u32 v57, s0, v57, -1
	s_delay_alu instid0(VALU_DEP_1)
	v_cndmask_b32_e64 v62, 0, 1, s0
	v_not_b32_e32 v66, v58
	v_cmp_gt_i32_e64 s0, 0, v58
	v_not_b32_e32 v58, v60
	v_lshlrev_b32_e32 v64, 26, v56
	v_cmp_ne_u32_e32 vcc_lo, 0, v62
	v_ashrrev_i32_e32 v66, 31, v66
	v_lshlrev_b32_e32 v65, 25, v56
	v_ashrrev_i32_e32 v58, 31, v58
	v_lshlrev_b32_e32 v62, 24, v56
	v_xor_b32_e32 v57, vcc_lo, v57
	v_cmp_gt_i32_e32 vcc_lo, 0, v60
	v_not_b32_e32 v60, v61
	v_xor_b32_e32 v66, s0, v66
	v_cmp_gt_i32_e64 s0, 0, v61
	v_and_b32_e32 v57, exec_lo, v57
	v_not_b32_e32 v61, v63
	v_ashrrev_i32_e32 v60, 31, v60
	v_xor_b32_e32 v58, vcc_lo, v58
	v_cmp_gt_i32_e32 vcc_lo, 0, v63
	v_and_b32_e32 v57, v57, v66
	v_not_b32_e32 v63, v64
	v_ashrrev_i32_e32 v61, 31, v61
	v_xor_b32_e32 v60, s0, v60
	v_cmp_gt_i32_e64 s0, 0, v64
	v_and_b32_e32 v57, v57, v58
	v_not_b32_e32 v58, v65
	v_ashrrev_i32_e32 v63, 31, v63
	v_xor_b32_e32 v61, vcc_lo, v61
	v_cmp_gt_i32_e32 vcc_lo, 0, v65
	v_and_b32_e32 v57, v57, v60
	v_not_b32_e32 v60, v62
	v_ashrrev_i32_e32 v58, 31, v58
	v_xor_b32_e32 v63, s0, v63
	v_lshl_add_u32 v56, v56, 4, v56
	v_and_b32_e32 v57, v57, v61
	v_cmp_gt_i32_e64 s0, 0, v62
	v_ashrrev_i32_e32 v60, 31, v60
	v_xor_b32_e32 v61, vcc_lo, v58
	v_add_lshl_u32 v58, v3, v56, 2
	v_and_b32_e32 v57, v57, v63
	s_delay_alu instid0(VALU_DEP_4) | instskip(SKIP_2) | instid1(VALU_DEP_1)
	v_xor_b32_e32 v60, s0, v60
	ds_load_b32 v56, v58 offset:64
	v_and_b32_e32 v57, v57, v61
	; wave barrier
	v_and_b32_e32 v60, v57, v60
	s_delay_alu instid0(VALU_DEP_1) | instskip(SKIP_1) | instid1(VALU_DEP_2)
	v_mbcnt_lo_u32_b32 v57, v60, 0
	v_cmp_ne_u32_e64 s0, 0, v60
	v_cmp_eq_u32_e32 vcc_lo, 0, v57
	s_delay_alu instid0(VALU_DEP_2) | instskip(NEXT) | instid1(SALU_CYCLE_1)
	s_and_b32 s1, s0, vcc_lo
	s_and_saveexec_b32 s0, s1
	s_cbranch_execz .LBB15_247
; %bb.246:
	s_waitcnt lgkmcnt(0)
	v_bcnt_u32_b32 v60, v60, v56
	ds_store_b32 v58, v60 offset:64
.LBB15_247:
	s_or_b32 exec_lo, exec_lo, s0
	v_xor_b32_e32 v55, 0x7fffffff, v55
	; wave barrier
	s_delay_alu instid0(VALU_DEP_1) | instskip(NEXT) | instid1(VALU_DEP_1)
	v_lshrrev_b32_e32 v60, s64, v55
	v_and_b32_e32 v60, s6, v60
	s_delay_alu instid0(VALU_DEP_1)
	v_and_b32_e32 v61, 1, v60
	v_lshlrev_b32_e32 v62, 30, v60
	v_lshlrev_b32_e32 v63, 29, v60
	;; [unrolled: 1-line block ×4, first 2 shown]
	v_add_co_u32 v61, s0, v61, -1
	s_delay_alu instid0(VALU_DEP_1)
	v_cndmask_b32_e64 v65, 0, 1, s0
	v_not_b32_e32 v69, v62
	v_cmp_gt_i32_e64 s0, 0, v62
	v_not_b32_e32 v62, v63
	v_lshlrev_b32_e32 v67, 26, v60
	v_cmp_ne_u32_e32 vcc_lo, 0, v65
	v_ashrrev_i32_e32 v69, 31, v69
	v_lshlrev_b32_e32 v68, 25, v60
	v_ashrrev_i32_e32 v62, 31, v62
	v_lshlrev_b32_e32 v65, 24, v60
	v_xor_b32_e32 v61, vcc_lo, v61
	v_cmp_gt_i32_e32 vcc_lo, 0, v63
	v_not_b32_e32 v63, v64
	v_xor_b32_e32 v69, s0, v69
	v_cmp_gt_i32_e64 s0, 0, v64
	v_and_b32_e32 v61, exec_lo, v61
	v_not_b32_e32 v64, v66
	v_ashrrev_i32_e32 v63, 31, v63
	v_xor_b32_e32 v62, vcc_lo, v62
	v_cmp_gt_i32_e32 vcc_lo, 0, v66
	v_and_b32_e32 v61, v61, v69
	v_not_b32_e32 v66, v67
	v_ashrrev_i32_e32 v64, 31, v64
	v_xor_b32_e32 v63, s0, v63
	v_cmp_gt_i32_e64 s0, 0, v67
	v_and_b32_e32 v61, v61, v62
	v_not_b32_e32 v62, v68
	v_ashrrev_i32_e32 v66, 31, v66
	v_xor_b32_e32 v64, vcc_lo, v64
	v_cmp_gt_i32_e32 vcc_lo, 0, v68
	v_and_b32_e32 v61, v61, v63
	v_not_b32_e32 v63, v65
	v_ashrrev_i32_e32 v62, 31, v62
	v_xor_b32_e32 v66, s0, v66
	v_lshl_add_u32 v60, v60, 4, v60
	v_and_b32_e32 v61, v61, v64
	v_cmp_gt_i32_e64 s0, 0, v65
	v_ashrrev_i32_e32 v63, 31, v63
	v_xor_b32_e32 v64, vcc_lo, v62
	v_add_lshl_u32 v62, v3, v60, 2
	v_and_b32_e32 v61, v61, v66
	s_delay_alu instid0(VALU_DEP_4) | instskip(SKIP_2) | instid1(VALU_DEP_1)
	v_xor_b32_e32 v63, s0, v63
	ds_load_b32 v60, v62 offset:64
	v_and_b32_e32 v61, v61, v64
	; wave barrier
	v_and_b32_e32 v63, v61, v63
	s_delay_alu instid0(VALU_DEP_1) | instskip(SKIP_1) | instid1(VALU_DEP_2)
	v_mbcnt_lo_u32_b32 v61, v63, 0
	v_cmp_ne_u32_e64 s0, 0, v63
	v_cmp_eq_u32_e32 vcc_lo, 0, v61
	s_delay_alu instid0(VALU_DEP_2) | instskip(NEXT) | instid1(SALU_CYCLE_1)
	s_and_b32 s1, s0, vcc_lo
	s_and_saveexec_b32 s0, s1
	s_cbranch_execz .LBB15_249
; %bb.248:
	s_waitcnt lgkmcnt(0)
	v_bcnt_u32_b32 v63, v63, v60
	ds_store_b32 v62, v63 offset:64
.LBB15_249:
	s_or_b32 exec_lo, exec_lo, s0
	v_xor_b32_e32 v59, 0x7fffffff, v59
	; wave barrier
	s_delay_alu instid0(VALU_DEP_1) | instskip(NEXT) | instid1(VALU_DEP_1)
	v_lshrrev_b32_e32 v63, s64, v59
	v_and_b32_e32 v63, s6, v63
	s_delay_alu instid0(VALU_DEP_1)
	v_and_b32_e32 v64, 1, v63
	v_lshlrev_b32_e32 v65, 30, v63
	v_lshlrev_b32_e32 v66, 29, v63
	;; [unrolled: 1-line block ×4, first 2 shown]
	v_add_co_u32 v64, s0, v64, -1
	s_delay_alu instid0(VALU_DEP_1)
	v_cndmask_b32_e64 v68, 0, 1, s0
	v_not_b32_e32 v72, v65
	v_cmp_gt_i32_e64 s0, 0, v65
	v_not_b32_e32 v65, v66
	v_lshlrev_b32_e32 v70, 26, v63
	v_cmp_ne_u32_e32 vcc_lo, 0, v68
	v_ashrrev_i32_e32 v72, 31, v72
	v_lshlrev_b32_e32 v71, 25, v63
	v_ashrrev_i32_e32 v65, 31, v65
	v_lshlrev_b32_e32 v68, 24, v63
	v_xor_b32_e32 v64, vcc_lo, v64
	v_cmp_gt_i32_e32 vcc_lo, 0, v66
	v_not_b32_e32 v66, v67
	v_xor_b32_e32 v72, s0, v72
	v_cmp_gt_i32_e64 s0, 0, v67
	v_and_b32_e32 v64, exec_lo, v64
	v_not_b32_e32 v67, v69
	v_ashrrev_i32_e32 v66, 31, v66
	v_xor_b32_e32 v65, vcc_lo, v65
	v_cmp_gt_i32_e32 vcc_lo, 0, v69
	v_and_b32_e32 v64, v64, v72
	v_not_b32_e32 v69, v70
	v_ashrrev_i32_e32 v67, 31, v67
	v_xor_b32_e32 v66, s0, v66
	v_cmp_gt_i32_e64 s0, 0, v70
	v_and_b32_e32 v64, v64, v65
	v_not_b32_e32 v65, v71
	v_ashrrev_i32_e32 v69, 31, v69
	v_xor_b32_e32 v67, vcc_lo, v67
	v_cmp_gt_i32_e32 vcc_lo, 0, v71
	v_and_b32_e32 v64, v64, v66
	v_not_b32_e32 v66, v68
	v_ashrrev_i32_e32 v65, 31, v65
	v_xor_b32_e32 v69, s0, v69
	v_lshl_add_u32 v63, v63, 4, v63
	v_and_b32_e32 v64, v64, v67
	v_cmp_gt_i32_e64 s0, 0, v68
	v_ashrrev_i32_e32 v66, 31, v66
	v_xor_b32_e32 v67, vcc_lo, v65
	v_add_lshl_u32 v65, v3, v63, 2
	v_and_b32_e32 v64, v64, v69
	s_delay_alu instid0(VALU_DEP_4) | instskip(SKIP_2) | instid1(VALU_DEP_1)
	v_xor_b32_e32 v66, s0, v66
	ds_load_b32 v63, v65 offset:64
	v_and_b32_e32 v64, v64, v67
	; wave barrier
	v_and_b32_e32 v66, v64, v66
	s_delay_alu instid0(VALU_DEP_1) | instskip(SKIP_1) | instid1(VALU_DEP_2)
	v_mbcnt_lo_u32_b32 v64, v66, 0
	v_cmp_ne_u32_e64 s0, 0, v66
	v_cmp_eq_u32_e32 vcc_lo, 0, v64
	s_delay_alu instid0(VALU_DEP_2) | instskip(NEXT) | instid1(SALU_CYCLE_1)
	s_and_b32 s1, s0, vcc_lo
	s_and_saveexec_b32 s0, s1
	s_cbranch_execz .LBB15_251
; %bb.250:
	s_waitcnt lgkmcnt(0)
	v_bcnt_u32_b32 v66, v66, v63
	ds_store_b32 v65, v66 offset:64
.LBB15_251:
	s_or_b32 exec_lo, exec_lo, s0
	v_xor_b32_e32 v54, 0x7fffffff, v54
	; wave barrier
	s_delay_alu instid0(VALU_DEP_1) | instskip(NEXT) | instid1(VALU_DEP_1)
	v_lshrrev_b32_e32 v66, s64, v54
	v_and_b32_e32 v66, s6, v66
	s_delay_alu instid0(VALU_DEP_1)
	v_and_b32_e32 v67, 1, v66
	v_lshlrev_b32_e32 v68, 30, v66
	v_lshlrev_b32_e32 v69, 29, v66
	;; [unrolled: 1-line block ×4, first 2 shown]
	v_add_co_u32 v67, s0, v67, -1
	s_delay_alu instid0(VALU_DEP_1)
	v_cndmask_b32_e64 v71, 0, 1, s0
	v_not_b32_e32 v75, v68
	v_cmp_gt_i32_e64 s0, 0, v68
	v_not_b32_e32 v68, v69
	v_lshlrev_b32_e32 v73, 26, v66
	v_cmp_ne_u32_e32 vcc_lo, 0, v71
	v_ashrrev_i32_e32 v75, 31, v75
	v_lshlrev_b32_e32 v74, 25, v66
	v_ashrrev_i32_e32 v68, 31, v68
	v_lshlrev_b32_e32 v71, 24, v66
	v_xor_b32_e32 v67, vcc_lo, v67
	v_cmp_gt_i32_e32 vcc_lo, 0, v69
	v_not_b32_e32 v69, v70
	v_xor_b32_e32 v75, s0, v75
	v_cmp_gt_i32_e64 s0, 0, v70
	v_and_b32_e32 v67, exec_lo, v67
	v_not_b32_e32 v70, v72
	v_ashrrev_i32_e32 v69, 31, v69
	v_xor_b32_e32 v68, vcc_lo, v68
	v_cmp_gt_i32_e32 vcc_lo, 0, v72
	v_and_b32_e32 v67, v67, v75
	v_not_b32_e32 v72, v73
	v_ashrrev_i32_e32 v70, 31, v70
	v_xor_b32_e32 v69, s0, v69
	v_cmp_gt_i32_e64 s0, 0, v73
	v_and_b32_e32 v67, v67, v68
	v_not_b32_e32 v68, v74
	v_ashrrev_i32_e32 v72, 31, v72
	v_xor_b32_e32 v70, vcc_lo, v70
	v_cmp_gt_i32_e32 vcc_lo, 0, v74
	v_and_b32_e32 v67, v67, v69
	v_not_b32_e32 v69, v71
	v_ashrrev_i32_e32 v68, 31, v68
	v_xor_b32_e32 v72, s0, v72
	v_lshl_add_u32 v66, v66, 4, v66
	v_and_b32_e32 v67, v67, v70
	v_cmp_gt_i32_e64 s0, 0, v71
	v_ashrrev_i32_e32 v69, 31, v69
	v_xor_b32_e32 v70, vcc_lo, v68
	v_add_lshl_u32 v68, v3, v66, 2
	v_and_b32_e32 v67, v67, v72
	s_delay_alu instid0(VALU_DEP_4) | instskip(SKIP_2) | instid1(VALU_DEP_1)
	v_xor_b32_e32 v69, s0, v69
	ds_load_b32 v66, v68 offset:64
	v_and_b32_e32 v67, v67, v70
	; wave barrier
	v_and_b32_e32 v69, v67, v69
	s_delay_alu instid0(VALU_DEP_1) | instskip(SKIP_1) | instid1(VALU_DEP_2)
	v_mbcnt_lo_u32_b32 v67, v69, 0
	v_cmp_ne_u32_e64 s0, 0, v69
	v_cmp_eq_u32_e32 vcc_lo, 0, v67
	s_delay_alu instid0(VALU_DEP_2) | instskip(NEXT) | instid1(SALU_CYCLE_1)
	s_and_b32 s1, s0, vcc_lo
	s_and_saveexec_b32 s0, s1
	s_cbranch_execz .LBB15_253
; %bb.252:
	s_waitcnt lgkmcnt(0)
	v_bcnt_u32_b32 v69, v69, v66
	ds_store_b32 v68, v69 offset:64
.LBB15_253:
	s_or_b32 exec_lo, exec_lo, s0
	v_xor_b32_e32 v49, 0x7fffffff, v49
	; wave barrier
	s_delay_alu instid0(VALU_DEP_1) | instskip(NEXT) | instid1(VALU_DEP_1)
	v_lshrrev_b32_e32 v69, s64, v49
	v_and_b32_e32 v69, s6, v69
	s_delay_alu instid0(VALU_DEP_1)
	v_and_b32_e32 v70, 1, v69
	v_lshlrev_b32_e32 v71, 30, v69
	v_lshlrev_b32_e32 v72, 29, v69
	;; [unrolled: 1-line block ×4, first 2 shown]
	v_add_co_u32 v70, s0, v70, -1
	s_delay_alu instid0(VALU_DEP_1)
	v_cndmask_b32_e64 v74, 0, 1, s0
	v_not_b32_e32 v78, v71
	v_cmp_gt_i32_e64 s0, 0, v71
	v_not_b32_e32 v71, v72
	v_lshlrev_b32_e32 v76, 26, v69
	v_cmp_ne_u32_e32 vcc_lo, 0, v74
	v_ashrrev_i32_e32 v78, 31, v78
	v_lshlrev_b32_e32 v77, 25, v69
	v_ashrrev_i32_e32 v71, 31, v71
	v_lshlrev_b32_e32 v74, 24, v69
	v_xor_b32_e32 v70, vcc_lo, v70
	v_cmp_gt_i32_e32 vcc_lo, 0, v72
	v_not_b32_e32 v72, v73
	v_xor_b32_e32 v78, s0, v78
	v_cmp_gt_i32_e64 s0, 0, v73
	v_and_b32_e32 v70, exec_lo, v70
	v_not_b32_e32 v73, v75
	v_ashrrev_i32_e32 v72, 31, v72
	v_xor_b32_e32 v71, vcc_lo, v71
	v_cmp_gt_i32_e32 vcc_lo, 0, v75
	v_and_b32_e32 v70, v70, v78
	v_not_b32_e32 v75, v76
	v_ashrrev_i32_e32 v73, 31, v73
	v_xor_b32_e32 v72, s0, v72
	v_cmp_gt_i32_e64 s0, 0, v76
	v_and_b32_e32 v70, v70, v71
	v_not_b32_e32 v71, v77
	v_ashrrev_i32_e32 v75, 31, v75
	v_xor_b32_e32 v73, vcc_lo, v73
	v_cmp_gt_i32_e32 vcc_lo, 0, v77
	v_and_b32_e32 v70, v70, v72
	v_not_b32_e32 v72, v74
	v_ashrrev_i32_e32 v71, 31, v71
	v_xor_b32_e32 v75, s0, v75
	v_lshl_add_u32 v69, v69, 4, v69
	v_and_b32_e32 v70, v70, v73
	v_cmp_gt_i32_e64 s0, 0, v74
	v_ashrrev_i32_e32 v73, 31, v72
	v_xor_b32_e32 v71, vcc_lo, v71
	v_add_lshl_u32 v72, v3, v69, 2
	v_and_b32_e32 v70, v70, v75
	s_delay_alu instid0(VALU_DEP_4) | instskip(NEXT) | instid1(VALU_DEP_2)
	v_xor_b32_e32 v69, s0, v73
	v_and_b32_e32 v71, v70, v71
	ds_load_b32 v70, v72 offset:64
	; wave barrier
	v_and_b32_e32 v69, v71, v69
	s_delay_alu instid0(VALU_DEP_1) | instskip(SKIP_1) | instid1(VALU_DEP_2)
	v_mbcnt_lo_u32_b32 v71, v69, 0
	v_cmp_ne_u32_e64 s0, 0, v69
	v_cmp_eq_u32_e32 vcc_lo, 0, v71
	s_delay_alu instid0(VALU_DEP_2) | instskip(NEXT) | instid1(SALU_CYCLE_1)
	s_and_b32 s1, s0, vcc_lo
	s_and_saveexec_b32 s0, s1
	s_cbranch_execz .LBB15_255
; %bb.254:
	s_waitcnt lgkmcnt(0)
	v_bcnt_u32_b32 v69, v69, v70
	ds_store_b32 v72, v69 offset:64
.LBB15_255:
	s_or_b32 exec_lo, exec_lo, s0
	v_xor_b32_e32 v69, 0x7fffffff, v9
	; wave barrier
	s_delay_alu instid0(VALU_DEP_1) | instskip(NEXT) | instid1(VALU_DEP_1)
	v_lshrrev_b32_e32 v9, s64, v69
	v_and_b32_e32 v9, s6, v9
	s_delay_alu instid0(VALU_DEP_1)
	v_and_b32_e32 v73, 1, v9
	v_lshlrev_b32_e32 v74, 30, v9
	v_lshlrev_b32_e32 v75, 29, v9
	;; [unrolled: 1-line block ×4, first 2 shown]
	v_add_co_u32 v73, s0, v73, -1
	s_delay_alu instid0(VALU_DEP_1)
	v_cndmask_b32_e64 v77, 0, 1, s0
	v_not_b32_e32 v81, v74
	v_cmp_gt_i32_e64 s0, 0, v74
	v_not_b32_e32 v74, v75
	v_lshlrev_b32_e32 v79, 26, v9
	v_cmp_ne_u32_e32 vcc_lo, 0, v77
	v_ashrrev_i32_e32 v81, 31, v81
	v_lshlrev_b32_e32 v80, 25, v9
	v_ashrrev_i32_e32 v74, 31, v74
	v_lshlrev_b32_e32 v77, 24, v9
	v_xor_b32_e32 v73, vcc_lo, v73
	v_cmp_gt_i32_e32 vcc_lo, 0, v75
	v_not_b32_e32 v75, v76
	v_xor_b32_e32 v81, s0, v81
	v_cmp_gt_i32_e64 s0, 0, v76
	v_and_b32_e32 v73, exec_lo, v73
	v_not_b32_e32 v76, v78
	v_ashrrev_i32_e32 v75, 31, v75
	v_xor_b32_e32 v74, vcc_lo, v74
	v_cmp_gt_i32_e32 vcc_lo, 0, v78
	v_and_b32_e32 v73, v73, v81
	v_not_b32_e32 v78, v79
	v_ashrrev_i32_e32 v76, 31, v76
	v_xor_b32_e32 v75, s0, v75
	v_cmp_gt_i32_e64 s0, 0, v79
	v_and_b32_e32 v73, v73, v74
	v_not_b32_e32 v74, v80
	v_ashrrev_i32_e32 v78, 31, v78
	v_xor_b32_e32 v76, vcc_lo, v76
	v_cmp_gt_i32_e32 vcc_lo, 0, v80
	v_and_b32_e32 v73, v73, v75
	v_not_b32_e32 v75, v77
	v_ashrrev_i32_e32 v74, 31, v74
	v_xor_b32_e32 v78, s0, v78
	v_lshl_add_u32 v9, v9, 4, v9
	v_and_b32_e32 v73, v73, v76
	v_cmp_gt_i32_e64 s0, 0, v77
	v_ashrrev_i32_e32 v75, 31, v75
	v_xor_b32_e32 v74, vcc_lo, v74
	v_add_lshl_u32 v77, v3, v9, 2
	v_and_b32_e32 v73, v73, v78
	s_delay_alu instid0(VALU_DEP_4) | instskip(NEXT) | instid1(VALU_DEP_2)
	v_xor_b32_e32 v9, s0, v75
	v_and_b32_e32 v73, v73, v74
	ds_load_b32 v74, v77 offset:64
	; wave barrier
	v_and_b32_e32 v9, v73, v9
	s_delay_alu instid0(VALU_DEP_1) | instskip(SKIP_1) | instid1(VALU_DEP_2)
	v_mbcnt_lo_u32_b32 v75, v9, 0
	v_cmp_ne_u32_e64 s0, 0, v9
	v_cmp_eq_u32_e32 vcc_lo, 0, v75
	s_delay_alu instid0(VALU_DEP_2) | instskip(NEXT) | instid1(SALU_CYCLE_1)
	s_and_b32 s1, s0, vcc_lo
	s_and_saveexec_b32 s0, s1
	s_cbranch_execz .LBB15_257
; %bb.256:
	s_waitcnt lgkmcnt(0)
	v_bcnt_u32_b32 v9, v9, v74
	ds_store_b32 v77, v9 offset:64
.LBB15_257:
	s_or_b32 exec_lo, exec_lo, s0
	v_xor_b32_e32 v73, 0x7fffffff, v8
	; wave barrier
	s_delay_alu instid0(VALU_DEP_1) | instskip(NEXT) | instid1(VALU_DEP_1)
	v_lshrrev_b32_e32 v8, s64, v73
	v_and_b32_e32 v8, s6, v8
	s_delay_alu instid0(VALU_DEP_1)
	v_and_b32_e32 v9, 1, v8
	v_lshlrev_b32_e32 v76, 30, v8
	v_lshlrev_b32_e32 v78, 29, v8
	;; [unrolled: 1-line block ×4, first 2 shown]
	v_add_co_u32 v9, s0, v9, -1
	s_delay_alu instid0(VALU_DEP_1)
	v_cndmask_b32_e64 v80, 0, 1, s0
	v_not_b32_e32 v84, v76
	v_cmp_gt_i32_e64 s0, 0, v76
	v_not_b32_e32 v76, v78
	v_lshlrev_b32_e32 v82, 26, v8
	v_cmp_ne_u32_e32 vcc_lo, 0, v80
	v_ashrrev_i32_e32 v84, 31, v84
	v_lshlrev_b32_e32 v83, 25, v8
	v_ashrrev_i32_e32 v76, 31, v76
	v_lshlrev_b32_e32 v80, 24, v8
	v_xor_b32_e32 v9, vcc_lo, v9
	v_cmp_gt_i32_e32 vcc_lo, 0, v78
	v_not_b32_e32 v78, v79
	v_xor_b32_e32 v84, s0, v84
	v_cmp_gt_i32_e64 s0, 0, v79
	v_and_b32_e32 v9, exec_lo, v9
	v_not_b32_e32 v79, v81
	v_ashrrev_i32_e32 v78, 31, v78
	v_xor_b32_e32 v76, vcc_lo, v76
	v_cmp_gt_i32_e32 vcc_lo, 0, v81
	v_and_b32_e32 v9, v9, v84
	v_not_b32_e32 v81, v82
	v_ashrrev_i32_e32 v79, 31, v79
	v_xor_b32_e32 v78, s0, v78
	v_cmp_gt_i32_e64 s0, 0, v82
	v_and_b32_e32 v9, v9, v76
	v_not_b32_e32 v76, v83
	v_ashrrev_i32_e32 v81, 31, v81
	v_xor_b32_e32 v79, vcc_lo, v79
	v_cmp_gt_i32_e32 vcc_lo, 0, v83
	v_and_b32_e32 v9, v9, v78
	v_not_b32_e32 v78, v80
	v_ashrrev_i32_e32 v76, 31, v76
	v_xor_b32_e32 v81, s0, v81
	v_lshl_add_u32 v8, v8, 4, v8
	v_and_b32_e32 v9, v9, v79
	v_cmp_gt_i32_e64 s0, 0, v80
	v_ashrrev_i32_e32 v78, 31, v78
	v_xor_b32_e32 v76, vcc_lo, v76
	s_delay_alu instid0(VALU_DEP_4) | instskip(SKIP_1) | instid1(VALU_DEP_4)
	v_and_b32_e32 v9, v9, v81
	v_add_lshl_u32 v81, v3, v8, 2
	v_xor_b32_e32 v8, s0, v78
	s_delay_alu instid0(VALU_DEP_3) | instskip(SKIP_2) | instid1(VALU_DEP_1)
	v_and_b32_e32 v9, v9, v76
	ds_load_b32 v79, v81 offset:64
	; wave barrier
	v_and_b32_e32 v8, v9, v8
	v_mbcnt_lo_u32_b32 v80, v8, 0
	v_cmp_ne_u32_e64 s0, 0, v8
	s_delay_alu instid0(VALU_DEP_2) | instskip(NEXT) | instid1(VALU_DEP_2)
	v_cmp_eq_u32_e32 vcc_lo, 0, v80
	s_and_b32 s1, s0, vcc_lo
	s_delay_alu instid0(SALU_CYCLE_1)
	s_and_saveexec_b32 s0, s1
	s_cbranch_execz .LBB15_259
; %bb.258:
	s_waitcnt lgkmcnt(0)
	v_bcnt_u32_b32 v8, v8, v79
	ds_store_b32 v81, v8 offset:64
.LBB15_259:
	s_or_b32 exec_lo, exec_lo, s0
	v_xor_b32_e32 v78, 0x7fffffff, v7
	; wave barrier
	s_delay_alu instid0(VALU_DEP_1) | instskip(NEXT) | instid1(VALU_DEP_1)
	v_lshrrev_b32_e32 v7, s64, v78
	v_and_b32_e32 v7, s6, v7
	s_delay_alu instid0(VALU_DEP_1)
	v_and_b32_e32 v8, 1, v7
	v_lshlrev_b32_e32 v9, 30, v7
	v_lshlrev_b32_e32 v76, 29, v7
	;; [unrolled: 1-line block ×4, first 2 shown]
	v_add_co_u32 v8, s0, v8, -1
	s_delay_alu instid0(VALU_DEP_1)
	v_cndmask_b32_e64 v83, 0, 1, s0
	v_not_b32_e32 v87, v9
	v_cmp_gt_i32_e64 s0, 0, v9
	v_not_b32_e32 v9, v76
	v_lshlrev_b32_e32 v85, 26, v7
	v_cmp_ne_u32_e32 vcc_lo, 0, v83
	v_ashrrev_i32_e32 v87, 31, v87
	v_lshlrev_b32_e32 v86, 25, v7
	v_ashrrev_i32_e32 v9, 31, v9
	v_lshlrev_b32_e32 v83, 24, v7
	v_xor_b32_e32 v8, vcc_lo, v8
	v_cmp_gt_i32_e32 vcc_lo, 0, v76
	v_not_b32_e32 v76, v82
	v_xor_b32_e32 v87, s0, v87
	v_cmp_gt_i32_e64 s0, 0, v82
	v_and_b32_e32 v8, exec_lo, v8
	v_not_b32_e32 v82, v84
	v_ashrrev_i32_e32 v76, 31, v76
	v_xor_b32_e32 v9, vcc_lo, v9
	v_cmp_gt_i32_e32 vcc_lo, 0, v84
	v_and_b32_e32 v8, v8, v87
	v_not_b32_e32 v84, v85
	v_ashrrev_i32_e32 v82, 31, v82
	v_xor_b32_e32 v76, s0, v76
	v_cmp_gt_i32_e64 s0, 0, v85
	v_and_b32_e32 v8, v8, v9
	v_not_b32_e32 v9, v86
	v_ashrrev_i32_e32 v84, 31, v84
	v_xor_b32_e32 v82, vcc_lo, v82
	v_cmp_gt_i32_e32 vcc_lo, 0, v86
	v_and_b32_e32 v8, v8, v76
	v_not_b32_e32 v76, v83
	v_ashrrev_i32_e32 v9, 31, v9
	v_xor_b32_e32 v84, s0, v84
	v_lshl_add_u32 v7, v7, 4, v7
	v_and_b32_e32 v8, v8, v82
	v_cmp_gt_i32_e64 s0, 0, v83
	v_ashrrev_i32_e32 v76, 31, v76
	v_xor_b32_e32 v9, vcc_lo, v9
	v_add_lshl_u32 v85, v3, v7, 2
	v_and_b32_e32 v8, v8, v84
	s_delay_alu instid0(VALU_DEP_4) | instskip(SKIP_2) | instid1(VALU_DEP_1)
	v_xor_b32_e32 v7, s0, v76
	ds_load_b32 v83, v85 offset:64
	v_and_b32_e32 v8, v8, v9
	; wave barrier
	v_and_b32_e32 v7, v8, v7
	s_delay_alu instid0(VALU_DEP_1) | instskip(SKIP_1) | instid1(VALU_DEP_2)
	v_mbcnt_lo_u32_b32 v84, v7, 0
	v_cmp_ne_u32_e64 s0, 0, v7
	v_cmp_eq_u32_e32 vcc_lo, 0, v84
	s_delay_alu instid0(VALU_DEP_2) | instskip(NEXT) | instid1(SALU_CYCLE_1)
	s_and_b32 s1, s0, vcc_lo
	s_and_saveexec_b32 s0, s1
	s_cbranch_execz .LBB15_261
; %bb.260:
	s_waitcnt lgkmcnt(0)
	v_bcnt_u32_b32 v7, v7, v83
	ds_store_b32 v85, v7 offset:64
.LBB15_261:
	s_or_b32 exec_lo, exec_lo, s0
	v_xor_b32_e32 v82, 0x7fffffff, v6
	; wave barrier
	s_delay_alu instid0(VALU_DEP_1) | instskip(NEXT) | instid1(VALU_DEP_1)
	v_lshrrev_b32_e32 v6, s64, v82
	v_and_b32_e32 v6, s6, v6
	s_delay_alu instid0(VALU_DEP_1)
	v_and_b32_e32 v7, 1, v6
	v_lshlrev_b32_e32 v8, 30, v6
	v_lshlrev_b32_e32 v9, 29, v6
	;; [unrolled: 1-line block ×4, first 2 shown]
	v_add_co_u32 v7, s0, v7, -1
	s_delay_alu instid0(VALU_DEP_1)
	v_cndmask_b32_e64 v86, 0, 1, s0
	v_not_b32_e32 v90, v8
	v_cmp_gt_i32_e64 s0, 0, v8
	v_not_b32_e32 v8, v9
	v_lshlrev_b32_e32 v88, 26, v6
	v_cmp_ne_u32_e32 vcc_lo, 0, v86
	v_ashrrev_i32_e32 v90, 31, v90
	v_lshlrev_b32_e32 v89, 25, v6
	v_ashrrev_i32_e32 v8, 31, v8
	v_lshlrev_b32_e32 v86, 24, v6
	v_xor_b32_e32 v7, vcc_lo, v7
	v_cmp_gt_i32_e32 vcc_lo, 0, v9
	v_not_b32_e32 v9, v76
	v_xor_b32_e32 v90, s0, v90
	v_cmp_gt_i32_e64 s0, 0, v76
	v_and_b32_e32 v7, exec_lo, v7
	v_not_b32_e32 v76, v87
	v_ashrrev_i32_e32 v9, 31, v9
	v_xor_b32_e32 v8, vcc_lo, v8
	v_cmp_gt_i32_e32 vcc_lo, 0, v87
	v_and_b32_e32 v7, v7, v90
	v_not_b32_e32 v87, v88
	v_ashrrev_i32_e32 v76, 31, v76
	v_xor_b32_e32 v9, s0, v9
	v_cmp_gt_i32_e64 s0, 0, v88
	v_and_b32_e32 v7, v7, v8
	v_not_b32_e32 v8, v89
	v_ashrrev_i32_e32 v87, 31, v87
	v_xor_b32_e32 v76, vcc_lo, v76
	v_cmp_gt_i32_e32 vcc_lo, 0, v89
	v_and_b32_e32 v7, v7, v9
	v_not_b32_e32 v9, v86
	v_ashrrev_i32_e32 v8, 31, v8
	v_xor_b32_e32 v87, s0, v87
	v_lshl_add_u32 v6, v6, 4, v6
	v_and_b32_e32 v7, v7, v76
	v_cmp_gt_i32_e64 s0, 0, v86
	v_ashrrev_i32_e32 v9, 31, v9
	v_xor_b32_e32 v8, vcc_lo, v8
	v_add_lshl_u32 v89, v3, v6, 2
	v_and_b32_e32 v7, v7, v87
	s_delay_alu instid0(VALU_DEP_4) | instskip(SKIP_2) | instid1(VALU_DEP_1)
	v_xor_b32_e32 v6, s0, v9
	ds_load_b32 v87, v89 offset:64
	v_and_b32_e32 v7, v7, v8
	; wave barrier
	v_and_b32_e32 v6, v7, v6
	s_delay_alu instid0(VALU_DEP_1) | instskip(SKIP_1) | instid1(VALU_DEP_2)
	v_mbcnt_lo_u32_b32 v88, v6, 0
	v_cmp_ne_u32_e64 s0, 0, v6
	v_cmp_eq_u32_e32 vcc_lo, 0, v88
	s_delay_alu instid0(VALU_DEP_2) | instskip(NEXT) | instid1(SALU_CYCLE_1)
	s_and_b32 s1, s0, vcc_lo
	s_and_saveexec_b32 s0, s1
	s_cbranch_execz .LBB15_263
; %bb.262:
	s_waitcnt lgkmcnt(0)
	v_bcnt_u32_b32 v6, v6, v87
	ds_store_b32 v89, v6 offset:64
.LBB15_263:
	s_or_b32 exec_lo, exec_lo, s0
	v_xor_b32_e32 v86, 0x7fffffff, v5
	; wave barrier
	s_delay_alu instid0(VALU_DEP_1) | instskip(NEXT) | instid1(VALU_DEP_1)
	v_lshrrev_b32_e32 v5, s64, v86
	v_and_b32_e32 v5, s6, v5
	s_delay_alu instid0(VALU_DEP_1)
	v_and_b32_e32 v6, 1, v5
	v_lshlrev_b32_e32 v7, 30, v5
	v_lshlrev_b32_e32 v8, 29, v5
	;; [unrolled: 1-line block ×4, first 2 shown]
	v_add_co_u32 v6, s0, v6, -1
	s_delay_alu instid0(VALU_DEP_1)
	v_cndmask_b32_e64 v76, 0, 1, s0
	v_not_b32_e32 v93, v7
	v_cmp_gt_i32_e64 s0, 0, v7
	v_not_b32_e32 v7, v8
	v_lshlrev_b32_e32 v91, 26, v5
	v_cmp_ne_u32_e32 vcc_lo, 0, v76
	v_ashrrev_i32_e32 v93, 31, v93
	v_lshlrev_b32_e32 v92, 25, v5
	v_ashrrev_i32_e32 v7, 31, v7
	v_lshlrev_b32_e32 v76, 24, v5
	v_xor_b32_e32 v6, vcc_lo, v6
	v_cmp_gt_i32_e32 vcc_lo, 0, v8
	v_not_b32_e32 v8, v9
	v_xor_b32_e32 v93, s0, v93
	v_cmp_gt_i32_e64 s0, 0, v9
	v_and_b32_e32 v6, exec_lo, v6
	v_not_b32_e32 v9, v90
	v_ashrrev_i32_e32 v8, 31, v8
	v_xor_b32_e32 v7, vcc_lo, v7
	v_cmp_gt_i32_e32 vcc_lo, 0, v90
	v_and_b32_e32 v6, v6, v93
	v_not_b32_e32 v90, v91
	v_ashrrev_i32_e32 v9, 31, v9
	v_xor_b32_e32 v8, s0, v8
	v_cmp_gt_i32_e64 s0, 0, v91
	v_and_b32_e32 v6, v6, v7
	v_not_b32_e32 v7, v92
	v_ashrrev_i32_e32 v90, 31, v90
	v_xor_b32_e32 v9, vcc_lo, v9
	v_cmp_gt_i32_e32 vcc_lo, 0, v92
	v_and_b32_e32 v6, v6, v8
	v_not_b32_e32 v8, v76
	v_ashrrev_i32_e32 v7, 31, v7
	v_xor_b32_e32 v90, s0, v90
	v_lshl_add_u32 v5, v5, 4, v5
	v_and_b32_e32 v6, v6, v9
	v_cmp_gt_i32_e64 s0, 0, v76
	v_ashrrev_i32_e32 v8, 31, v8
	v_xor_b32_e32 v7, vcc_lo, v7
	v_add_lshl_u32 v93, v3, v5, 2
	v_and_b32_e32 v6, v6, v90
	s_delay_alu instid0(VALU_DEP_4) | instskip(SKIP_2) | instid1(VALU_DEP_1)
	v_xor_b32_e32 v5, s0, v8
	ds_load_b32 v91, v93 offset:64
	v_and_b32_e32 v6, v6, v7
	; wave barrier
	v_and_b32_e32 v5, v6, v5
	s_delay_alu instid0(VALU_DEP_1) | instskip(SKIP_1) | instid1(VALU_DEP_2)
	v_mbcnt_lo_u32_b32 v92, v5, 0
	v_cmp_ne_u32_e64 s0, 0, v5
	v_cmp_eq_u32_e32 vcc_lo, 0, v92
	s_delay_alu instid0(VALU_DEP_2) | instskip(NEXT) | instid1(SALU_CYCLE_1)
	s_and_b32 s1, s0, vcc_lo
	s_and_saveexec_b32 s0, s1
	s_cbranch_execz .LBB15_265
; %bb.264:
	s_waitcnt lgkmcnt(0)
	v_bcnt_u32_b32 v5, v5, v91
	ds_store_b32 v93, v5 offset:64
.LBB15_265:
	s_or_b32 exec_lo, exec_lo, s0
	v_xor_b32_e32 v90, 0x7fffffff, v4
	; wave barrier
	s_delay_alu instid0(VALU_DEP_1) | instskip(NEXT) | instid1(VALU_DEP_1)
	v_lshrrev_b32_e32 v4, s64, v90
	v_and_b32_e32 v4, s6, v4
	s_delay_alu instid0(VALU_DEP_1)
	v_and_b32_e32 v5, 1, v4
	v_lshlrev_b32_e32 v6, 30, v4
	v_lshlrev_b32_e32 v7, 29, v4
	;; [unrolled: 1-line block ×4, first 2 shown]
	v_add_co_u32 v5, s0, v5, -1
	s_delay_alu instid0(VALU_DEP_1)
	v_cndmask_b32_e64 v9, 0, 1, s0
	v_not_b32_e32 v96, v6
	v_cmp_gt_i32_e64 s0, 0, v6
	v_not_b32_e32 v6, v7
	v_lshlrev_b32_e32 v94, 26, v4
	v_cmp_ne_u32_e32 vcc_lo, 0, v9
	v_ashrrev_i32_e32 v96, 31, v96
	v_lshlrev_b32_e32 v95, 25, v4
	v_ashrrev_i32_e32 v6, 31, v6
	v_lshlrev_b32_e32 v9, 24, v4
	v_xor_b32_e32 v5, vcc_lo, v5
	v_cmp_gt_i32_e32 vcc_lo, 0, v7
	v_not_b32_e32 v7, v8
	v_xor_b32_e32 v96, s0, v96
	v_cmp_gt_i32_e64 s0, 0, v8
	v_and_b32_e32 v5, exec_lo, v5
	v_not_b32_e32 v8, v76
	v_ashrrev_i32_e32 v7, 31, v7
	v_xor_b32_e32 v6, vcc_lo, v6
	v_cmp_gt_i32_e32 vcc_lo, 0, v76
	v_and_b32_e32 v5, v5, v96
	v_not_b32_e32 v76, v94
	v_ashrrev_i32_e32 v8, 31, v8
	v_xor_b32_e32 v7, s0, v7
	v_cmp_gt_i32_e64 s0, 0, v94
	v_and_b32_e32 v5, v5, v6
	v_not_b32_e32 v6, v95
	v_ashrrev_i32_e32 v76, 31, v76
	v_xor_b32_e32 v8, vcc_lo, v8
	v_cmp_gt_i32_e32 vcc_lo, 0, v95
	v_and_b32_e32 v5, v5, v7
	v_not_b32_e32 v7, v9
	v_ashrrev_i32_e32 v6, 31, v6
	v_xor_b32_e32 v76, s0, v76
	v_lshl_add_u32 v4, v4, 4, v4
	v_and_b32_e32 v5, v5, v8
	v_cmp_gt_i32_e64 s0, 0, v9
	v_ashrrev_i32_e32 v7, 31, v7
	v_xor_b32_e32 v6, vcc_lo, v6
	v_add_lshl_u32 v97, v3, v4, 2
	v_and_b32_e32 v5, v5, v76
	s_delay_alu instid0(VALU_DEP_4) | instskip(SKIP_2) | instid1(VALU_DEP_1)
	v_xor_b32_e32 v4, s0, v7
	ds_load_b32 v95, v97 offset:64
	v_and_b32_e32 v5, v5, v6
	; wave barrier
	v_and_b32_e32 v4, v5, v4
	s_delay_alu instid0(VALU_DEP_1) | instskip(SKIP_1) | instid1(VALU_DEP_2)
	v_mbcnt_lo_u32_b32 v96, v4, 0
	v_cmp_ne_u32_e64 s0, 0, v4
	v_cmp_eq_u32_e32 vcc_lo, 0, v96
	s_delay_alu instid0(VALU_DEP_2) | instskip(NEXT) | instid1(SALU_CYCLE_1)
	s_and_b32 s1, s0, vcc_lo
	s_and_saveexec_b32 s0, s1
	s_cbranch_execz .LBB15_267
; %bb.266:
	s_waitcnt lgkmcnt(0)
	v_bcnt_u32_b32 v4, v4, v95
	ds_store_b32 v97, v4 offset:64
.LBB15_267:
	s_or_b32 exec_lo, exec_lo, s0
	v_xor_b32_e32 v94, 0x7fffffff, v2
	; wave barrier
	v_add_nc_u32_e32 v101, 64, v15
	s_delay_alu instid0(VALU_DEP_2) | instskip(NEXT) | instid1(VALU_DEP_1)
	v_lshrrev_b32_e32 v2, s64, v94
	v_and_b32_e32 v2, s6, v2
	s_delay_alu instid0(VALU_DEP_1)
	v_and_b32_e32 v4, 1, v2
	v_lshlrev_b32_e32 v5, 30, v2
	v_lshlrev_b32_e32 v6, 29, v2
	v_lshlrev_b32_e32 v7, 28, v2
	v_lshlrev_b32_e32 v9, 27, v2
	v_add_co_u32 v4, s0, v4, -1
	s_delay_alu instid0(VALU_DEP_1)
	v_cndmask_b32_e64 v8, 0, 1, s0
	v_not_b32_e32 v99, v5
	v_cmp_gt_i32_e64 s0, 0, v5
	v_not_b32_e32 v5, v6
	v_lshlrev_b32_e32 v76, 26, v2
	v_cmp_ne_u32_e32 vcc_lo, 0, v8
	v_ashrrev_i32_e32 v99, 31, v99
	v_lshlrev_b32_e32 v98, 25, v2
	v_ashrrev_i32_e32 v5, 31, v5
	v_lshlrev_b32_e32 v8, 24, v2
	v_xor_b32_e32 v4, vcc_lo, v4
	v_cmp_gt_i32_e32 vcc_lo, 0, v6
	v_not_b32_e32 v6, v7
	v_xor_b32_e32 v99, s0, v99
	v_cmp_gt_i32_e64 s0, 0, v7
	v_and_b32_e32 v4, exec_lo, v4
	v_not_b32_e32 v7, v9
	v_ashrrev_i32_e32 v6, 31, v6
	v_xor_b32_e32 v5, vcc_lo, v5
	v_cmp_gt_i32_e32 vcc_lo, 0, v9
	v_and_b32_e32 v4, v4, v99
	v_not_b32_e32 v9, v76
	v_ashrrev_i32_e32 v7, 31, v7
	v_xor_b32_e32 v6, s0, v6
	v_cmp_gt_i32_e64 s0, 0, v76
	v_and_b32_e32 v4, v4, v5
	v_not_b32_e32 v5, v98
	v_ashrrev_i32_e32 v9, 31, v9
	v_xor_b32_e32 v7, vcc_lo, v7
	v_cmp_gt_i32_e32 vcc_lo, 0, v98
	v_and_b32_e32 v4, v4, v6
	v_not_b32_e32 v6, v8
	v_ashrrev_i32_e32 v5, 31, v5
	v_xor_b32_e32 v9, s0, v9
	v_lshl_add_u32 v2, v2, 4, v2
	v_and_b32_e32 v4, v4, v7
	v_cmp_gt_i32_e64 s0, 0, v8
	v_ashrrev_i32_e32 v6, 31, v6
	v_xor_b32_e32 v5, vcc_lo, v5
	v_add_lshl_u32 v100, v3, v2, 2
	v_and_b32_e32 v4, v4, v9
	s_delay_alu instid0(VALU_DEP_4) | instskip(SKIP_2) | instid1(VALU_DEP_1)
	v_xor_b32_e32 v2, s0, v6
	ds_load_b32 v98, v100 offset:64
	v_and_b32_e32 v3, v4, v5
	; wave barrier
	v_and_b32_e32 v2, v3, v2
	s_delay_alu instid0(VALU_DEP_1) | instskip(SKIP_1) | instid1(VALU_DEP_2)
	v_mbcnt_lo_u32_b32 v99, v2, 0
	v_cmp_ne_u32_e64 s0, 0, v2
	v_cmp_eq_u32_e32 vcc_lo, 0, v99
	s_delay_alu instid0(VALU_DEP_2) | instskip(NEXT) | instid1(SALU_CYCLE_1)
	s_and_b32 s1, s0, vcc_lo
	s_and_saveexec_b32 s0, s1
	s_cbranch_execz .LBB15_269
; %bb.268:
	s_waitcnt lgkmcnt(0)
	v_bcnt_u32_b32 v2, v2, v98
	ds_store_b32 v100, v2 offset:64
.LBB15_269:
	s_or_b32 exec_lo, exec_lo, s0
	; wave barrier
	s_waitcnt lgkmcnt(0)
	s_barrier
	buffer_gl0_inv
	ds_load_2addr_b32 v[8:9], v15 offset0:16 offset1:17
	ds_load_2addr_b32 v[6:7], v101 offset0:2 offset1:3
	;; [unrolled: 1-line block ×4, first 2 shown]
	ds_load_b32 v76, v101 offset:32
	v_min_u32_e32 v13, 0x1e0, v13
	s_mov_b32 s7, exec_lo
	s_delay_alu instid0(VALU_DEP_1) | instskip(SKIP_3) | instid1(VALU_DEP_1)
	v_or_b32_e32 v104, 31, v13
	s_waitcnt lgkmcnt(3)
	v_add3_u32 v102, v9, v8, v6
	s_waitcnt lgkmcnt(2)
	v_add3_u32 v102, v102, v7, v4
	s_waitcnt lgkmcnt(1)
	s_delay_alu instid0(VALU_DEP_1) | instskip(SKIP_1) | instid1(VALU_DEP_1)
	v_add3_u32 v102, v102, v5, v2
	s_waitcnt lgkmcnt(0)
	v_add3_u32 v76, v102, v3, v76
	v_and_b32_e32 v102, 15, v11
	s_delay_alu instid0(VALU_DEP_2) | instskip(NEXT) | instid1(VALU_DEP_2)
	v_mov_b32_dpp v103, v76 row_shr:1 row_mask:0xf bank_mask:0xf
	v_cmp_eq_u32_e32 vcc_lo, 0, v102
	v_cmp_lt_u32_e64 s0, 1, v102
	v_cmp_lt_u32_e64 s1, 3, v102
	;; [unrolled: 1-line block ×3, first 2 shown]
	v_cndmask_b32_e64 v103, v103, 0, vcc_lo
	s_delay_alu instid0(VALU_DEP_1) | instskip(NEXT) | instid1(VALU_DEP_1)
	v_add_nc_u32_e32 v76, v103, v76
	v_mov_b32_dpp v103, v76 row_shr:2 row_mask:0xf bank_mask:0xf
	s_delay_alu instid0(VALU_DEP_1) | instskip(NEXT) | instid1(VALU_DEP_1)
	v_cndmask_b32_e64 v103, 0, v103, s0
	v_add_nc_u32_e32 v76, v76, v103
	s_delay_alu instid0(VALU_DEP_1) | instskip(NEXT) | instid1(VALU_DEP_1)
	v_mov_b32_dpp v103, v76 row_shr:4 row_mask:0xf bank_mask:0xf
	v_cndmask_b32_e64 v103, 0, v103, s1
	s_delay_alu instid0(VALU_DEP_1) | instskip(NEXT) | instid1(VALU_DEP_1)
	v_add_nc_u32_e32 v76, v76, v103
	v_mov_b32_dpp v103, v76 row_shr:8 row_mask:0xf bank_mask:0xf
	s_delay_alu instid0(VALU_DEP_1) | instskip(SKIP_1) | instid1(VALU_DEP_2)
	v_cndmask_b32_e64 v102, 0, v103, s2
	v_bfe_i32 v103, v11, 4, 1
	v_add_nc_u32_e32 v76, v76, v102
	ds_swizzle_b32 v102, v76 offset:swizzle(BROADCAST,32,15)
	s_waitcnt lgkmcnt(0)
	v_and_b32_e32 v103, v103, v102
	v_lshrrev_b32_e32 v102, 5, v1
	s_delay_alu instid0(VALU_DEP_2)
	v_add_nc_u32_e32 v13, v76, v103
	v_cmpx_eq_u32_e64 v104, v1
	s_cbranch_execz .LBB15_271
; %bb.270:
	s_delay_alu instid0(VALU_DEP_3)
	v_lshlrev_b32_e32 v76, 2, v102
	ds_store_b32 v76, v13
.LBB15_271:
	s_or_b32 exec_lo, exec_lo, s7
	v_lshlrev_b32_e32 v76, 2, v1
	s_mov_b32 s7, exec_lo
	s_waitcnt lgkmcnt(0)
	s_barrier
	buffer_gl0_inv
	v_cmpx_gt_u32_e32 16, v1
	s_cbranch_execz .LBB15_273
; %bb.272:
	ds_load_b32 v103, v76
	s_waitcnt lgkmcnt(0)
	v_mov_b32_dpp v104, v103 row_shr:1 row_mask:0xf bank_mask:0xf
	s_delay_alu instid0(VALU_DEP_1) | instskip(NEXT) | instid1(VALU_DEP_1)
	v_cndmask_b32_e64 v104, v104, 0, vcc_lo
	v_add_nc_u32_e32 v103, v104, v103
	s_delay_alu instid0(VALU_DEP_1) | instskip(NEXT) | instid1(VALU_DEP_1)
	v_mov_b32_dpp v104, v103 row_shr:2 row_mask:0xf bank_mask:0xf
	v_cndmask_b32_e64 v104, 0, v104, s0
	s_delay_alu instid0(VALU_DEP_1) | instskip(NEXT) | instid1(VALU_DEP_1)
	v_add_nc_u32_e32 v103, v103, v104
	v_mov_b32_dpp v104, v103 row_shr:4 row_mask:0xf bank_mask:0xf
	s_delay_alu instid0(VALU_DEP_1) | instskip(NEXT) | instid1(VALU_DEP_1)
	v_cndmask_b32_e64 v104, 0, v104, s1
	v_add_nc_u32_e32 v103, v103, v104
	s_delay_alu instid0(VALU_DEP_1) | instskip(NEXT) | instid1(VALU_DEP_1)
	v_mov_b32_dpp v104, v103 row_shr:8 row_mask:0xf bank_mask:0xf
	v_cndmask_b32_e64 v104, 0, v104, s2
	s_delay_alu instid0(VALU_DEP_1)
	v_add_nc_u32_e32 v103, v103, v104
	ds_store_b32 v76, v103
.LBB15_273:
	s_or_b32 exec_lo, exec_lo, s7
	v_mov_b32_e32 v103, 0
	s_mov_b32 s0, exec_lo
	s_waitcnt lgkmcnt(0)
	s_barrier
	buffer_gl0_inv
	v_cmpx_lt_u32_e32 31, v1
	s_cbranch_execz .LBB15_275
; %bb.274:
	v_lshl_add_u32 v102, v102, 2, -4
	ds_load_b32 v103, v102
.LBB15_275:
	s_or_b32 exec_lo, exec_lo, s0
	v_add_nc_u32_e32 v102, -1, v11
	v_cmp_lt_u32_e64 s0, 0xff, v1
	s_waitcnt lgkmcnt(0)
	v_add_nc_u32_e32 v13, v103, v13
	s_delay_alu instid0(VALU_DEP_3) | instskip(SKIP_2) | instid1(VALU_DEP_2)
	v_cmp_gt_i32_e32 vcc_lo, 0, v102
	v_cndmask_b32_e32 v102, v102, v11, vcc_lo
	v_cmp_eq_u32_e32 vcc_lo, 0, v11
	v_lshlrev_b32_e32 v102, 2, v102
	ds_bpermute_b32 v13, v102, v13
	s_waitcnt lgkmcnt(0)
	v_cndmask_b32_e32 v13, v13, v103, vcc_lo
	v_cmp_ne_u32_e32 vcc_lo, 0, v1
	s_delay_alu instid0(VALU_DEP_2) | instskip(SKIP_1) | instid1(VALU_DEP_2)
	v_cndmask_b32_e32 v13, 0, v13, vcc_lo
	v_cmp_gt_u32_e32 vcc_lo, 0x100, v1
	v_add_nc_u32_e32 v8, v13, v8
	s_delay_alu instid0(VALU_DEP_1) | instskip(NEXT) | instid1(VALU_DEP_1)
	v_add_nc_u32_e32 v9, v8, v9
	v_add_nc_u32_e32 v6, v9, v6
	s_delay_alu instid0(VALU_DEP_1) | instskip(NEXT) | instid1(VALU_DEP_1)
	v_add_nc_u32_e32 v7, v6, v7
	;; [unrolled: 3-line block ×3, first 2 shown]
	v_add_nc_u32_e32 v2, v5, v2
	s_delay_alu instid0(VALU_DEP_1)
	v_add_nc_u32_e32 v3, v2, v3
	ds_store_2addr_b32 v15, v13, v8 offset0:16 offset1:17
	ds_store_2addr_b32 v101, v9, v6 offset0:2 offset1:3
	ds_store_2addr_b32 v101, v7, v4 offset0:4 offset1:5
	ds_store_2addr_b32 v101, v5, v2 offset0:6 offset1:7
	ds_store_b32 v101, v3 offset:32
	s_waitcnt lgkmcnt(0)
	s_barrier
	buffer_gl0_inv
	ds_load_b32 v2, v16 offset:64
	ds_load_b32 v5, v20 offset:64
	;; [unrolled: 1-line block ×22, first 2 shown]
	v_mov_b32_e32 v3, 0
	v_mov_b32_e32 v4, 0
                                        ; implicit-def: $vgpr13
	s_and_saveexec_b32 s2, vcc_lo
	s_cbranch_execz .LBB15_279
; %bb.276:
	v_mul_u32_u24_e32 v3, 17, v1
	s_mov_b32 s3, exec_lo
	s_delay_alu instid0(VALU_DEP_1)
	v_dual_mov_b32 v4, 0x2c00 :: v_dual_lshlrev_b32 v13, 2, v3
	ds_load_b32 v3, v13 offset:64
	v_cmpx_ne_u32_e32 0xff, v1
	s_cbranch_execz .LBB15_278
; %bb.277:
	ds_load_b32 v4, v13 offset:132
.LBB15_278:
	s_or_b32 exec_lo, exec_lo, s3
	s_waitcnt lgkmcnt(0)
	v_sub_nc_u32_e32 v13, v4, v3
	v_mov_b32_e32 v4, 0
.LBB15_279:
	s_or_b32 exec_lo, exec_lo, s2
	s_waitcnt lgkmcnt(21)
	v_add_nc_u32_e32 v14, v2, v14
	s_waitcnt lgkmcnt(20)
	v_add3_u32 v15, v19, v18, v5
	s_waitcnt lgkmcnt(19)
	v_add3_u32 v16, v23, v22, v6
	;; [unrolled: 2-line block ×4, first 2 shown]
	v_lshlrev_b32_e32 v2, 2, v14
	v_lshlrev_b32_e32 v5, 2, v15
	s_waitcnt lgkmcnt(16)
	v_add3_u32 v20, v35, v34, v9
	s_waitcnt lgkmcnt(15)
	v_add3_u32 v22, v39, v38, v24
	;; [unrolled: 2-line block ×3, first 2 shown]
	s_waitcnt lgkmcnt(0)
	s_barrier
	buffer_gl0_inv
	ds_store_b32 v2, v10 offset:2048
	ds_store_b32 v5, v0 offset:2048
	v_lshlrev_b32_e32 v0, 2, v16
	v_add3_u32 v24, v47, v46, v32
	v_lshlrev_b32_e32 v2, 2, v18
	v_add3_u32 v26, v52, v51, v36
	;; [unrolled: 2-line block ×5, first 2 shown]
	ds_store_b32 v0, v17 offset:2048
	ds_store_b32 v2, v21 offset:2048
	;; [unrolled: 1-line block ×5, first 2 shown]
	v_lshlrev_b32_e32 v0, 2, v23
	v_add3_u32 v31, v67, v66, v53
	v_lshlrev_b32_e32 v2, 2, v24
	v_add3_u32 v32, v71, v70, v58
	;; [unrolled: 2-line block ×5, first 2 shown]
	v_add3_u32 v38, v88, v87, v72
	ds_store_b32 v0, v37 offset:2048
	ds_store_b32 v2, v41 offset:2048
	;; [unrolled: 1-line block ×5, first 2 shown]
	v_lshlrev_b32_e32 v0, 2, v30
	v_lshlrev_b32_e32 v2, 2, v31
	v_add3_u32 v39, v92, v91, v77
	v_lshlrev_b32_e32 v5, 2, v32
	v_add3_u32 v40, v96, v95, v81
	;; [unrolled: 2-line block ×3, first 2 shown]
	v_lshlrev_b32_e32 v7, 2, v35
	ds_store_b32 v0, v59 offset:2048
	ds_store_b32 v2, v54 offset:2048
	;; [unrolled: 1-line block ×5, first 2 shown]
	v_lshlrev_b32_e32 v0, 2, v36
	v_lshlrev_b32_e32 v2, 2, v38
	;; [unrolled: 1-line block ×5, first 2 shown]
	ds_store_b32 v0, v78 offset:2048
	ds_store_b32 v2, v82 offset:2048
	;; [unrolled: 1-line block ×5, first 2 shown]
	s_waitcnt lgkmcnt(0)
	s_barrier
	buffer_gl0_inv
	s_and_saveexec_b32 s1, s0
	s_delay_alu instid0(SALU_CYCLE_1)
	s_xor_b32 s0, exec_lo, s1
; %bb.280:
	v_mov_b32_e32 v2, 0
; %bb.281:
	s_and_not1_saveexec_b32 s1, s0
	s_cbranch_execz .LBB15_291
; %bb.282:
	v_lshl_or_b32 v7, s15, 8, v1
	v_mov_b32_e32 v8, 0
	v_or_b32_e32 v2, 2.0, v13
	v_mov_b32_e32 v0, 0
	s_mov_b32 s2, 0
	s_mov_b32 s3, s15
	v_lshlrev_b64 v[5:6], 2, v[7:8]
	s_delay_alu instid0(VALU_DEP_1) | instskip(NEXT) | instid1(VALU_DEP_1)
	v_add_co_u32 v5, s0, s68, v5
	v_add_co_ci_u32_e64 v6, s0, s69, v6, s0
                                        ; implicit-def: $sgpr0
	global_store_b32 v[5:6], v2, off
	s_branch .LBB15_285
	.p2align	6
.LBB15_283:                             ;   in Loop: Header=BB15_285 Depth=1
	s_or_b32 exec_lo, exec_lo, s8
.LBB15_284:                             ;   in Loop: Header=BB15_285 Depth=1
	s_delay_alu instid0(SALU_CYCLE_1) | instskip(SKIP_2) | instid1(VALU_DEP_2)
	s_or_b32 exec_lo, exec_lo, s7
	v_and_b32_e32 v7, 0x3fffffff, v7
	v_cmp_eq_u32_e64 s0, 0x80000000, v2
	v_add_nc_u32_e32 v0, v7, v0
	s_delay_alu instid0(VALU_DEP_2) | instskip(NEXT) | instid1(SALU_CYCLE_1)
	s_and_b32 s7, exec_lo, s0
	s_or_b32 s2, s7, s2
	s_delay_alu instid0(SALU_CYCLE_1)
	s_and_not1_b32 exec_lo, exec_lo, s2
	s_cbranch_execz .LBB15_290
.LBB15_285:                             ; =>This Loop Header: Depth=1
                                        ;     Child Loop BB15_288 Depth 2
	s_or_b32 s0, s0, exec_lo
	s_cmp_eq_u32 s3, 0
	s_cbranch_scc1 .LBB15_289
; %bb.286:                              ;   in Loop: Header=BB15_285 Depth=1
	s_add_i32 s3, s3, -1
	s_mov_b32 s7, exec_lo
	v_lshl_or_b32 v7, s3, 8, v1
	s_delay_alu instid0(VALU_DEP_1) | instskip(NEXT) | instid1(VALU_DEP_1)
	v_lshlrev_b64 v[9:10], 2, v[7:8]
	v_add_co_u32 v9, s0, s68, v9
	s_delay_alu instid0(VALU_DEP_1) | instskip(SKIP_3) | instid1(VALU_DEP_1)
	v_add_co_ci_u32_e64 v10, s0, s69, v10, s0
	global_load_b32 v7, v[9:10], off glc
	s_waitcnt vmcnt(0)
	v_and_b32_e32 v2, -2.0, v7
	v_cmpx_eq_u32_e32 0, v2
	s_cbranch_execz .LBB15_284
; %bb.287:                              ;   in Loop: Header=BB15_285 Depth=1
	s_mov_b32 s8, 0
.LBB15_288:                             ;   Parent Loop BB15_285 Depth=1
                                        ; =>  This Inner Loop Header: Depth=2
	global_load_b32 v7, v[9:10], off glc
	s_waitcnt vmcnt(0)
	v_and_b32_e32 v2, -2.0, v7
	s_delay_alu instid0(VALU_DEP_1) | instskip(NEXT) | instid1(VALU_DEP_1)
	v_cmp_ne_u32_e64 s0, 0, v2
	s_or_b32 s8, s0, s8
	s_delay_alu instid0(SALU_CYCLE_1)
	s_and_not1_b32 exec_lo, exec_lo, s8
	s_cbranch_execnz .LBB15_288
	s_branch .LBB15_283
.LBB15_289:                             ;   in Loop: Header=BB15_285 Depth=1
                                        ; implicit-def: $sgpr3
	s_and_b32 s7, exec_lo, s0
	s_delay_alu instid0(SALU_CYCLE_1) | instskip(NEXT) | instid1(SALU_CYCLE_1)
	s_or_b32 s2, s7, s2
	s_and_not1_b32 exec_lo, exec_lo, s2
	s_cbranch_execnz .LBB15_285
.LBB15_290:
	s_or_b32 exec_lo, exec_lo, s2
	v_add_nc_u32_e32 v2, v0, v13
	v_lshlrev_b32_e32 v7, 3, v1
	v_sub_co_u32 v0, s0, v0, v3
	s_delay_alu instid0(VALU_DEP_3)
	v_or_b32_e32 v2, 0x80000000, v2
	global_store_b32 v[5:6], v2, off
	global_load_b64 v[5:6], v7, s[60:61]
	v_sub_co_ci_u32_e64 v2, s0, 0, v4, s0
	s_waitcnt vmcnt(0)
	v_add_co_u32 v5, s0, v0, v5
	s_delay_alu instid0(VALU_DEP_1)
	v_add_co_ci_u32_e64 v6, s0, v2, v6, s0
	v_mov_b32_e32 v2, 0
	ds_store_b64 v7, v[5:6]
.LBB15_291:
	s_or_b32 exec_lo, exec_lo, s1
	s_waitcnt lgkmcnt(0)
	s_waitcnt_vscnt null, 0x0
	s_barrier
	buffer_gl0_inv
	ds_load_2addr_stride64_b32 v[5:6], v76 offset0:16 offset1:24
	ds_load_2addr_stride64_b32 v[7:8], v76 offset0:32 offset1:40
	;; [unrolled: 1-line block ×3, first 2 shown]
	v_lshlrev_b32_e32 v0, 2, v1
	v_lshlrev_b64 v[52:53], 2, v[1:2]
	v_add_nc_u32_e32 v33, 0x1800, v76
	v_add_nc_u32_e32 v70, 0x1e00, v1
	;; [unrolled: 1-line block ×3, first 2 shown]
	ds_load_b32 v17, v0 offset:2048
	s_waitcnt lgkmcnt(3)
	v_lshrrev_b32_e32 v0, s64, v5
	s_waitcnt lgkmcnt(2)
	v_lshrrev_b32_e32 v21, s64, v7
	;; [unrolled: 2-line block ×3, first 2 shown]
	v_lshrrev_b32_e32 v41, s64, v6
	v_lshrrev_b32_e32 v47, s64, v8
	v_and_b32_e32 v0, s6, v0
	v_and_b32_e32 v21, s6, v21
	;; [unrolled: 1-line block ×3, first 2 shown]
	v_lshrrev_b32_e32 v48, s64, v10
	v_and_b32_e32 v41, s6, v41
	v_lshlrev_b32_e32 v37, 3, v0
	v_lshlrev_b32_e32 v29, 3, v21
	s_waitcnt lgkmcnt(0)
	v_lshrrev_b32_e32 v21, s64, v17
	v_lshlrev_b32_e32 v0, 3, v25
	ds_load_b64 v[43:44], v37
	ds_load_b64 v[45:46], v29
	;; [unrolled: 1-line block ×3, first 2 shown]
	v_and_b32_e32 v21, s6, v21
	v_xor_b32_e32 v62, 0x7fffffff, v7
	ds_load_2addr_stride64_b32 v[54:55], v76 offset0:64 offset1:72
	v_or_b32_e32 v25, 0x1000, v76
	v_xor_b32_e32 v17, 0x7fffffff, v17
	v_lshlrev_b32_e32 v49, 3, v21
	v_xor_b32_e32 v21, 0x7fffffff, v5
	v_and_b32_e32 v5, s6, v47
	v_and_b32_e32 v47, s6, v48
	v_lshlrev_b32_e32 v48, 3, v41
	ds_load_b64 v[56:57], v49
	v_xor_b32_e32 v41, 0x7fffffff, v6
	v_lshlrev_b32_e32 v6, 3, v5
	v_lshlrev_b32_e32 v5, 3, v47
	ds_load_b64 v[58:59], v48
	v_xor_b32_e32 v47, 0x7fffffff, v8
	s_waitcnt lgkmcnt(5)
	v_lshlrev_b64 v[7:8], 2, v[43:44]
	s_waitcnt lgkmcnt(4)
	v_lshlrev_b64 v[45:46], 2, v[45:46]
	ds_load_b64 v[43:44], v6
	ds_load_b64 v[60:61], v5
	v_add_co_u32 v63, s0, s54, v7
	s_delay_alu instid0(VALU_DEP_1) | instskip(SKIP_1) | instid1(VALU_DEP_1)
	v_add_co_ci_u32_e64 v64, s0, s55, v8, s0
	v_add_co_u32 v65, s0, s54, v45
	v_add_co_ci_u32_e64 v66, s0, s55, v46, s0
	s_waitcnt lgkmcnt(3)
	v_lshlrev_b64 v[7:8], 2, v[56:57]
	v_add_co_u32 v45, s0, v63, v52
	s_waitcnt lgkmcnt(2)
	v_lshlrev_b64 v[56:57], 2, v[58:59]
	v_add_co_ci_u32_e64 v46, s0, v64, v53, s0
	s_delay_alu instid0(VALU_DEP_4) | instskip(NEXT) | instid1(VALU_DEP_1)
	v_add_co_u32 v7, s0, s54, v7
	v_add_co_ci_u32_e64 v8, s0, s55, v8, s0
	s_delay_alu instid0(VALU_DEP_4) | instskip(NEXT) | instid1(VALU_DEP_1)
	v_add_co_u32 v56, s0, s54, v56
	;; [unrolled: 3-line block ×3, first 2 shown]
	v_add_co_ci_u32_e64 v8, s0, v8, v53, s0
	s_delay_alu instid0(VALU_DEP_4) | instskip(SKIP_4) | instid1(VALU_DEP_1)
	v_add_co_u32 v52, s0, v56, v25
	s_waitcnt lgkmcnt(1)
	v_lshlrev_b64 v[43:44], 2, v[43:44]
	v_add_co_ci_u32_e64 v53, s0, 0, v57, s0
	v_add_co_u32 v56, s0, v65, v33
	v_add_co_ci_u32_e64 v57, s0, 0, v66, s0
	s_clause 0x3
	global_store_b32 v[7:8], v17, off
	global_store_b32 v[45:46], v21, off offset:2048
	global_store_b32 v[52:53], v41, off
	global_store_b32 v[56:57], v62, off
	v_add_co_u32 v17, s0, s54, v43
	v_or_b32_e32 v25, 0x2000, v76
	v_add_co_ci_u32_e64 v21, s0, s55, v44, s0
	v_lshrrev_b32_e32 v33, s64, v54
	ds_load_2addr_stride64_b32 v[43:44], v76 offset0:80 offset1:88
	v_add_co_u32 v45, s0, v17, v25
	v_lshlrev_b64 v[7:8], 2, v[50:51]
	v_add_co_ci_u32_e64 v46, s0, 0, v21, s0
	v_and_b32_e32 v21, s6, v33
	v_xor_b32_e32 v17, 0x7fffffff, v9
	v_add_nc_u32_e32 v9, 0x2800, v76
	v_add_co_u32 v25, s0, s54, v7
	s_delay_alu instid0(VALU_DEP_4) | instskip(SKIP_2) | instid1(VALU_DEP_4)
	v_lshlrev_b32_e32 v7, 3, v21
	v_lshrrev_b32_e32 v21, s64, v55
	v_add_co_ci_u32_e64 v8, s0, s55, v8, s0
	v_add_co_u32 v50, s0, v25, v9
	ds_load_b64 v[52:53], v7
	v_and_b32_e32 v21, s6, v21
	v_add_co_ci_u32_e64 v51, s0, 0, v8, s0
	s_waitcnt lgkmcnt(2)
	v_lshlrev_b64 v[8:9], 2, v[60:61]
	s_waitcnt lgkmcnt(1)
	v_lshrrev_b32_e32 v25, s64, v43
	v_lshrrev_b32_e32 v33, s64, v44
	v_xor_b32_e32 v41, 0x7fffffff, v10
	v_lshlrev_b32_e32 v10, 3, v21
	v_or_b32_e32 v58, 0x3000, v76
	v_and_b32_e32 v21, s6, v25
	v_and_b32_e32 v25, s6, v33
	v_add_co_u32 v33, s0, s54, v8
	ds_load_b64 v[56:57], v10
	v_add_co_ci_u32_e64 v59, s0, s55, v9, s0
	v_lshlrev_b32_e32 v8, 3, v21
	v_add_co_u32 v58, s0, v33, v58
	v_lshlrev_b32_e32 v9, 3, v25
	s_delay_alu instid0(VALU_DEP_4)
	v_add_co_ci_u32_e64 v59, s0, 0, v59, s0
	ds_load_b64 v[60:61], v8
	ds_load_b64 v[62:63], v9
	s_waitcnt lgkmcnt(3)
	v_lshlrev_b64 v[52:53], 2, v[52:53]
	s_clause 0x2
	global_store_b32 v[45:46], v47, off
	global_store_b32 v[50:51], v17, off
	;; [unrolled: 1-line block ×3, first 2 shown]
	ds_load_2addr_stride64_b32 v[50:51], v76 offset0:96 offset1:104
	v_add_nc_u32_e32 v41, 0x3800, v76
	v_or_b32_e32 v17, 0x1000, v1
	v_xor_b32_e32 v21, 0x7fffffff, v54
	v_add_co_u32 v25, s0, s54, v52
	s_delay_alu instid0(VALU_DEP_1) | instskip(SKIP_2) | instid1(VALU_DEP_3)
	v_add_co_ci_u32_e64 v33, s0, s55, v53, s0
	s_waitcnt lgkmcnt(3)
	v_lshlrev_b64 v[45:46], 2, v[56:57]
	v_add_co_u32 v52, s0, v25, v41
	s_delay_alu instid0(VALU_DEP_1) | instskip(SKIP_1) | instid1(VALU_DEP_4)
	v_add_co_ci_u32_e64 v53, s0, 0, v33, s0
	v_lshlrev_b32_e32 v25, 2, v17
	v_add_co_u32 v33, s0, s54, v45
	global_store_b32 v[52:53], v21, off
	ds_load_2addr_stride64_b32 v[52:53], v76 offset0:112 offset1:120
	v_add_co_ci_u32_e64 v41, s0, s55, v46, s0
	v_add_co_u32 v45, s0, v33, v25
	s_waitcnt lgkmcnt(1)
	v_lshrrev_b32_e32 v33, s64, v50
	v_xor_b32_e32 v47, 0x7fffffff, v55
	v_add_co_ci_u32_e64 v46, s0, 0, v41, s0
	v_lshlrev_b64 v[54:55], 2, v[60:61]
	s_delay_alu instid0(VALU_DEP_4)
	v_and_b32_e32 v33, s6, v33
	v_add_nc_u32_e32 v21, 0x1200, v1
	v_lshrrev_b32_e32 v56, s64, v51
	global_store_b32 v[45:46], v47, off
	v_xor_b32_e32 v64, 0x7fffffff, v43
	v_lshlrev_b32_e32 v45, 3, v33
	v_lshlrev_b32_e32 v25, 2, v21
	v_add_co_u32 v41, s0, s54, v54
	s_delay_alu instid0(VALU_DEP_1)
	v_add_co_ci_u32_e64 v43, s0, s55, v55, s0
	v_and_b32_e32 v33, s6, v56
	v_lshlrev_b64 v[54:55], 2, v[62:63]
	ds_load_b64 v[56:57], v45
	v_add_co_u32 v46, s0, v41, v25
	s_waitcnt lgkmcnt(1)
	v_lshrrev_b32_e32 v41, s64, v52
	v_add_co_ci_u32_e64 v47, s0, 0, v43, s0
	v_lshrrev_b32_e32 v43, s64, v53
	v_xor_b32_e32 v65, 0x7fffffff, v44
	v_lshlrev_b32_e32 v44, 3, v33
	v_or_b32_e32 v25, 0x1400, v1
	v_add_co_u32 v58, s0, s54, v54
	v_and_b32_e32 v33, s6, v41
	v_and_b32_e32 v43, s6, v43
	v_add_co_ci_u32_e64 v59, s0, s55, v55, s0
	ds_load_b64 v[54:55], v44
	v_lshlrev_b32_e32 v60, 2, v25
	v_lshlrev_b32_e32 v41, 3, v33
	;; [unrolled: 1-line block ×3, first 2 shown]
	s_waitcnt lgkmcnt(1)
	v_lshlrev_b64 v[56:57], 2, v[56:57]
	v_add_nc_u32_e32 v43, 0x1600, v1
	v_add_co_u32 v58, s0, v58, v60
	s_delay_alu instid0(VALU_DEP_1)
	v_add_co_ci_u32_e64 v59, s0, 0, v59, s0
	ds_load_b64 v[60:61], v41
	ds_load_b64 v[62:63], v33
	s_clause 0x1
	global_store_b32 v[46:47], v64, off
	global_store_b32 v[58:59], v65, off
	ds_load_2addr_stride64_b32 v[58:59], v76 offset0:128 offset1:136
	v_xor_b32_e32 v64, 0x7fffffff, v50
	v_lshlrev_b32_e32 v47, 2, v43
	v_add_co_u32 v50, s0, s54, v56
	s_delay_alu instid0(VALU_DEP_1) | instskip(SKIP_4) | instid1(VALU_DEP_1)
	v_add_co_ci_u32_e64 v57, s0, s55, v57, s0
	s_waitcnt lgkmcnt(3)
	v_lshlrev_b64 v[54:55], 2, v[54:55]
	v_or_b32_e32 v46, 0x1800, v1
	v_add_co_u32 v56, s0, v50, v47
	v_add_co_ci_u32_e64 v57, s0, 0, v57, s0
	s_delay_alu instid0(VALU_DEP_3)
	v_lshlrev_b32_e32 v66, 2, v46
	v_add_co_u32 v54, s0, s54, v54
	v_xor_b32_e32 v65, 0x7fffffff, v51
	v_add_co_ci_u32_e64 v55, s0, s55, v55, s0
	s_waitcnt lgkmcnt(2)
	v_lshlrev_b64 v[50:51], 2, v[60:61]
	v_add_nc_u32_e32 v47, 0x1a00, v1
	v_add_co_u32 v54, s0, v54, v66
	ds_load_2addr_stride64_b32 v[60:61], v76 offset0:144 offset1:152
	v_add_co_ci_u32_e64 v55, s0, 0, v55, s0
	v_lshlrev_b32_e32 v66, 2, v47
	v_add_co_u32 v50, s0, s54, v50
	s_waitcnt lgkmcnt(1)
	v_lshrrev_b32_e32 v67, s64, v58
	v_add_co_ci_u32_e64 v51, s0, s55, v51, s0
	s_delay_alu instid0(VALU_DEP_3) | instskip(NEXT) | instid1(VALU_DEP_3)
	v_add_co_u32 v50, s0, v50, v66
	v_and_b32_e32 v66, s6, v67
	v_xor_b32_e32 v52, 0x7fffffff, v52
	v_lshrrev_b32_e32 v68, s64, v59
	v_add_co_ci_u32_e64 v51, s0, 0, v51, s0
	s_clause 0x1
	global_store_b32 v[56:57], v64, off
	global_store_b32 v[54:55], v65, off
	v_lshlrev_b32_e32 v64, 3, v66
	v_and_b32_e32 v54, s6, v68
	global_store_b32 v[50:51], v52, off
	v_xor_b32_e32 v66, 0x7fffffff, v53
	v_lshlrev_b64 v[52:53], 2, v[62:63]
	ds_load_b64 v[50:51], v64
	v_or_b32_e32 v65, 0x1c00, v1
	s_waitcnt lgkmcnt(1)
	v_lshrrev_b32_e32 v56, s64, v60
	v_lshrrev_b32_e32 v57, s64, v61
	v_lshlrev_b32_e32 v67, 3, v54
	v_add_co_u32 v52, s0, s54, v52
	v_lshlrev_b32_e32 v62, 2, v65
	v_and_b32_e32 v56, s6, v56
	ds_load_b64 v[54:55], v67
	v_add_co_ci_u32_e64 v53, s0, s55, v53, s0
	v_and_b32_e32 v57, s6, v57
	v_add_co_u32 v52, s0, v52, v62
	v_lshlrev_b32_e32 v68, 3, v56
	s_delay_alu instid0(VALU_DEP_4) | instskip(NEXT) | instid1(VALU_DEP_4)
	v_add_co_ci_u32_e64 v53, s0, 0, v53, s0
	v_lshlrev_b32_e32 v69, 3, v57
	ds_load_b64 v[56:57], v68
	ds_load_b64 v[62:63], v69
	global_store_b32 v[52:53], v66, off
	ds_load_2addr_stride64_b32 v[52:53], v76 offset0:160 offset1:168
	s_waitcnt lgkmcnt(4)
	v_lshlrev_b64 v[50:51], 2, v[50:51]
	v_xor_b32_e32 v66, 0x7fffffff, v58
	v_lshlrev_b32_e32 v58, 2, v70
	ds_load_b32 v76, v76 offset:45056
	v_xor_b32_e32 v60, 0x7fffffff, v60
	v_xor_b32_e32 v61, 0x7fffffff, v61
	v_add_co_u32 v71, s0, s54, v50
	s_delay_alu instid0(VALU_DEP_1) | instskip(SKIP_2) | instid1(VALU_DEP_3)
	v_add_co_ci_u32_e64 v72, s0, s55, v51, s0
	s_waitcnt lgkmcnt(4)
	v_lshlrev_b64 v[50:51], 2, v[54:55]
	v_add_co_u32 v54, s0, v71, v58
	v_or_b32_e32 v71, 0x2000, v1
	v_add_co_ci_u32_e64 v55, s0, 0, v72, s0
	s_delay_alu instid0(VALU_DEP_4) | instskip(NEXT) | instid1(VALU_DEP_3)
	v_add_co_u32 v58, s0, s54, v50
	v_lshlrev_b32_e32 v73, 2, v71
	v_xor_b32_e32 v72, 0x7fffffff, v59
	v_add_co_ci_u32_e64 v59, s0, s55, v51, s0
	s_waitcnt lgkmcnt(1)
	v_lshrrev_b32_e32 v75, s64, v52
	v_lshlrev_b64 v[50:51], 2, v[56:57]
	v_add_co_u32 v56, s0, v58, v73
	s_delay_alu instid0(VALU_DEP_1) | instskip(NEXT) | instid1(VALU_DEP_4)
	v_add_co_ci_u32_e64 v57, s0, 0, v59, s0
	v_and_b32_e32 v59, s6, v75
	v_lshlrev_b32_e32 v58, 2, v74
	v_add_co_u32 v50, s0, s54, v50
	v_lshrrev_b32_e32 v75, s64, v53
	v_add_co_ci_u32_e64 v51, s0, s55, v51, s0
	v_lshlrev_b32_e32 v73, 3, v59
	s_delay_alu instid0(VALU_DEP_4) | instskip(NEXT) | instid1(VALU_DEP_4)
	v_add_co_u32 v50, s0, v50, v58
	v_and_b32_e32 v75, s6, v75
	s_delay_alu instid0(VALU_DEP_4)
	v_add_co_ci_u32_e64 v51, s0, 0, v51, s0
	ds_load_b64 v[58:59], v73
	s_waitcnt lgkmcnt(1)
	v_lshrrev_b32_e32 v77, s64, v76
	s_clause 0x2
	global_store_b32 v[54:55], v66, off
	global_store_b32 v[56:57], v72, off
	;; [unrolled: 1-line block ×3, first 2 shown]
	v_lshlrev_b32_e32 v60, 3, v75
	v_lshlrev_b64 v[50:51], 2, v[62:63]
	v_or_b32_e32 v62, 0x2400, v1
	v_and_b32_e32 v56, s6, v77
	v_add_nc_u32_e32 v77, 0x2600, v1
	ds_load_b64 v[54:55], v60
	v_add_co_u32 v66, s0, s54, v50
	v_lshlrev_b32_e32 v63, 3, v56
	v_add_co_ci_u32_e64 v72, s0, s55, v51, s0
	v_lshlrev_b32_e32 v75, 2, v62
	ds_load_b64 v[50:51], v63
	s_waitcnt lgkmcnt(2)
	v_lshlrev_b64 v[56:57], 2, v[58:59]
	v_add_co_u32 v58, s0, v66, v75
	s_delay_alu instid0(VALU_DEP_1) | instskip(SKIP_3) | instid1(VALU_DEP_1)
	v_add_co_ci_u32_e64 v59, s0, 0, v72, s0
	v_xor_b32_e32 v66, 0x7fffffff, v52
	v_lshlrev_b32_e32 v52, 2, v77
	v_add_co_u32 v56, s0, s54, v56
	v_add_co_ci_u32_e64 v57, s0, s55, v57, s0
	s_waitcnt lgkmcnt(1)
	v_lshlrev_b64 v[54:55], 2, v[54:55]
	v_or_b32_e32 v72, 0x2800, v1
	v_add_co_u32 v56, s0, v56, v52
	s_delay_alu instid0(VALU_DEP_1) | instskip(SKIP_1) | instid1(VALU_DEP_4)
	v_add_co_ci_u32_e64 v57, s0, 0, v57, s0
	v_xor_b32_e32 v75, 0x7fffffff, v53
	v_lshlrev_b32_e32 v52, 2, v72
	v_add_co_u32 v53, s0, s54, v54
	s_delay_alu instid0(VALU_DEP_1) | instskip(SKIP_2) | instid1(VALU_DEP_3)
	v_add_co_ci_u32_e64 v54, s0, s55, v55, s0
	s_waitcnt lgkmcnt(0)
	v_lshlrev_b64 v[50:51], 2, v[50:51]
	v_add_co_u32 v52, s0, v53, v52
	s_delay_alu instid0(VALU_DEP_1) | instskip(SKIP_1) | instid1(VALU_DEP_4)
	v_add_co_ci_u32_e64 v53, s0, 0, v54, s0
	v_add_nc_u32_e32 v54, 0x2a00, v1
	v_add_co_u32 v50, s0, s54, v50
	v_xor_b32_e32 v55, 0x7fffffff, v76
	v_add_co_ci_u32_e64 v51, s0, s55, v51, s0
	s_delay_alu instid0(VALU_DEP_4) | instskip(SKIP_3) | instid1(VALU_DEP_1)
	v_lshlrev_b32_e32 v76, 2, v54
	s_add_u32 s0, s56, s50
	s_addc_u32 s1, s57, 0
	v_add_co_u32 v11, s0, s0, v11
	v_add_co_ci_u32_e64 v78, null, s1, 0, s0
	v_add_co_u32 v50, s0, v50, v76
	s_delay_alu instid0(VALU_DEP_1) | instskip(NEXT) | instid1(VALU_DEP_4)
	v_add_co_ci_u32_e64 v51, s0, 0, v51, s0
	v_add_co_u32 v11, s0, v11, v12
	s_delay_alu instid0(VALU_DEP_1)
	v_add_co_ci_u32_e64 v12, s0, 0, v78, s0
	s_clause 0x3
	global_store_b32 v[58:59], v61, off
	global_store_b32 v[56:57], v66, off
	;; [unrolled: 1-line block ×4, first 2 shown]
	s_clause 0x15
	global_load_u8 v50, v[11:12], off
	global_load_u8 v51, v[11:12], off offset:32
	global_load_u8 v52, v[11:12], off offset:64
	;; [unrolled: 1-line block ×21, first 2 shown]
	s_waitcnt vmcnt(0)
	s_waitcnt_vscnt null, 0x0
	s_barrier
	buffer_gl0_inv
	s_add_i32 s5, s5, -1
	ds_store_b8 v14, v50 offset:2048
	ds_store_b8 v15, v51 offset:2048
	;; [unrolled: 1-line block ×22, first 2 shown]
	s_waitcnt lgkmcnt(0)
	s_barrier
	buffer_gl0_inv
	ds_load_b64 v[11:12], v49
	ds_load_u8 v16, v1 offset:2048
	ds_load_b64 v[14:15], v37
	ds_load_b64 v[18:19], v48
	;; [unrolled: 1-line block ×3, first 2 shown]
	ds_load_u8 v20, v1 offset:2560
	ds_load_b64 v[26:27], v60
	ds_load_b64 v[28:29], v63
	s_cmp_eq_u32 s15, s5
	s_waitcnt lgkmcnt(7)
	v_add_co_u32 v11, s0, s58, v11
	s_delay_alu instid0(VALU_DEP_1) | instskip(NEXT) | instid1(VALU_DEP_2)
	v_add_co_ci_u32_e64 v12, s0, s59, v12, s0
	v_add_co_u32 v11, s0, v11, v1
	s_delay_alu instid0(VALU_DEP_1)
	v_add_co_ci_u32_e64 v12, s0, v12, v2, s0
	s_waitcnt lgkmcnt(6)
	global_store_b8 v[11:12], v16, off
	s_waitcnt lgkmcnt(5)
	v_add_co_u32 v11, s0, s58, v14
	ds_load_u8 v16, v1 offset:3072
	v_add_co_ci_u32_e64 v12, s0, s59, v15, s0
	v_add_co_u32 v11, s0, v11, v1
	s_delay_alu instid0(VALU_DEP_1) | instskip(SKIP_2) | instid1(VALU_DEP_1)
	v_add_co_ci_u32_e64 v12, s0, v12, v2, s0
	s_waitcnt lgkmcnt(5)
	v_add_co_u32 v14, s0, s58, v18
	v_add_co_ci_u32_e64 v15, s0, s59, v19, s0
	s_waitcnt lgkmcnt(3)
	global_store_b8 v[11:12], v20, off offset:512
	v_add_co_u32 v11, s0, v14, v1
	s_delay_alu instid0(VALU_DEP_1)
	v_add_co_ci_u32_e64 v12, s0, v15, v2, s0
	ds_load_b64 v[14:15], v6
	ds_load_u8 v20, v1 offset:3584
	ds_load_u8 v24, v1 offset:4096
	;; [unrolled: 1-line block ×7, first 2 shown]
	ds_load_b64 v[5:6], v5
	s_waitcnt lgkmcnt(9)
	global_store_b8 v[11:12], v16, off offset:1024
	ds_load_b64 v[11:12], v0
	v_add_co_u32 v0, s0, s58, v22
	s_delay_alu instid0(VALU_DEP_1) | instskip(SKIP_2) | instid1(VALU_DEP_1)
	v_add_co_ci_u32_e64 v16, s0, s59, v23, s0
	ds_load_b64 v[22:23], v7
	v_add_co_u32 v18, s0, v0, v1
	v_add_co_ci_u32_e64 v19, s0, v16, v2, s0
	s_waitcnt lgkmcnt(10)
	v_add_co_u32 v0, s0, s58, v14
	s_delay_alu instid0(VALU_DEP_1) | instskip(SKIP_3) | instid1(VALU_DEP_1)
	v_add_co_ci_u32_e64 v7, s0, s59, v15, s0
	s_waitcnt lgkmcnt(9)
	global_store_b8 v[18:19], v20, off offset:1536
	v_add_co_u32 v14, s0, v0, v1
	v_add_co_ci_u32_e64 v15, s0, v7, v2, s0
	s_waitcnt lgkmcnt(1)
	v_add_co_u32 v0, s0, s58, v11
	s_delay_alu instid0(VALU_DEP_1) | instskip(SKIP_2) | instid1(VALU_DEP_1)
	v_add_co_ci_u32_e64 v7, s0, s59, v12, s0
	ds_load_b64 v[10:11], v10
	v_add_co_u32 v12, s0, s58, v5
	v_add_co_ci_u32_e64 v16, s0, s59, v6, s0
	v_add_co_u32 v5, s0, v0, v1
	s_delay_alu instid0(VALU_DEP_1) | instskip(NEXT) | instid1(VALU_DEP_4)
	v_add_co_ci_u32_e64 v6, s0, v7, v2, s0
	v_add_co_u32 v18, s0, v12, v1
	s_delay_alu instid0(VALU_DEP_1) | instskip(SKIP_2) | instid1(VALU_DEP_1)
	v_add_co_ci_u32_e64 v19, s0, v16, v2, s0
	s_waitcnt lgkmcnt(1)
	v_add_co_u32 v0, s0, s58, v22
	v_add_co_ci_u32_e64 v12, s0, s59, v23, s0
	ds_load_b64 v[7:8], v8
	ds_load_b64 v[22:23], v9
	;; [unrolled: 1-line block ×3, first 2 shown]
	s_waitcnt lgkmcnt(3)
	v_add_co_u32 v16, s0, s58, v10
	s_delay_alu instid0(VALU_DEP_1) | instskip(SKIP_1) | instid1(VALU_DEP_1)
	v_add_co_ci_u32_e64 v20, s0, s59, v11, s0
	v_add_co_u32 v9, s0, v0, v1
	v_add_co_ci_u32_e64 v10, s0, v12, v2, s0
	s_delay_alu instid0(VALU_DEP_4) | instskip(NEXT) | instid1(VALU_DEP_1)
	v_add_co_u32 v11, s0, v16, v17
	v_add_co_ci_u32_e64 v12, s0, 0, v20, s0
	s_clause 0x4
	global_store_b8 v[14:15], v24, off offset:2048
	global_store_b8 v[5:6], v32, off offset:2560
	;; [unrolled: 1-line block ×4, first 2 shown]
	global_store_b8 v[11:12], v36, off
	ds_load_u8 v9, v1 offset:7168
	s_waitcnt lgkmcnt(3)
	v_add_co_u32 v0, s0, s58, v7
	s_delay_alu instid0(VALU_DEP_1) | instskip(NEXT) | instid1(VALU_DEP_2)
	v_add_co_ci_u32_e64 v6, s0, s59, v8, s0
	v_add_co_u32 v5, s0, v0, v21
	s_delay_alu instid0(VALU_DEP_1) | instskip(SKIP_2) | instid1(VALU_DEP_1)
	v_add_co_ci_u32_e64 v6, s0, 0, v6, s0
	s_waitcnt lgkmcnt(2)
	v_add_co_u32 v0, s0, s58, v22
	v_add_co_ci_u32_e64 v7, s0, s59, v23, s0
	global_store_b8 v[5:6], v37, off
	v_add_co_u32 v5, s0, v0, v25
	s_delay_alu instid0(VALU_DEP_1)
	v_add_co_ci_u32_e64 v6, s0, 0, v7, s0
	ds_load_b64 v[7:8], v44
	ds_load_u8 v0, v1 offset:7680
	ds_load_u8 v22, v1 offset:8192
	;; [unrolled: 1-line block ×7, first 2 shown]
	s_waitcnt lgkmcnt(9)
	v_add_co_u32 v11, s0, s58, v30
	s_waitcnt lgkmcnt(8)
	global_store_b8 v[5:6], v9, off
	ds_load_b64 v[5:6], v41
	ds_load_b64 v[14:15], v64
	v_add_co_ci_u32_e64 v12, s0, s59, v31, s0
	ds_load_b64 v[9:10], v33
	v_add_co_u32 v11, s0, v11, v43
	s_delay_alu instid0(VALU_DEP_1) | instskip(SKIP_2) | instid1(VALU_DEP_1)
	v_add_co_ci_u32_e64 v12, s0, 0, v12, s0
	s_waitcnt lgkmcnt(10)
	v_add_co_u32 v7, s0, s58, v7
	v_add_co_ci_u32_e64 v8, s0, s59, v8, s0
	s_waitcnt lgkmcnt(9)
	global_store_b8 v[11:12], v0, off
	v_add_co_u32 v7, s0, v7, v46
	s_delay_alu instid0(VALU_DEP_1) | instskip(SKIP_2) | instid1(VALU_DEP_1)
	v_add_co_ci_u32_e64 v8, s0, 0, v8, s0
	s_waitcnt lgkmcnt(2)
	v_add_co_u32 v0, s0, s58, v5
	v_add_co_ci_u32_e64 v11, s0, s59, v6, s0
	ds_load_b64 v[5:6], v67
	s_waitcnt lgkmcnt(1)
	v_add_co_u32 v12, s0, s58, v9
	s_delay_alu instid0(VALU_DEP_1) | instskip(SKIP_1) | instid1(VALU_DEP_1)
	v_add_co_ci_u32_e64 v16, s0, s59, v10, s0
	v_add_co_u32 v9, s0, v0, v47
	v_add_co_ci_u32_e64 v10, s0, 0, v11, s0
	s_delay_alu instid0(VALU_DEP_4) | instskip(NEXT) | instid1(VALU_DEP_1)
	v_add_co_u32 v11, s0, v12, v65
	v_add_co_ci_u32_e64 v12, s0, 0, v16, s0
	v_add_co_u32 v0, s0, s58, v14
	s_delay_alu instid0(VALU_DEP_1)
	v_add_co_ci_u32_e64 v20, s0, s59, v15, s0
	ds_load_b64 v[14:15], v68
	ds_load_b64 v[16:17], v69
	;; [unrolled: 1-line block ×3, first 2 shown]
	s_waitcnt lgkmcnt(3)
	v_add_co_u32 v21, s0, s58, v5
	s_delay_alu instid0(VALU_DEP_1) | instskip(SKIP_1) | instid1(VALU_DEP_1)
	v_add_co_ci_u32_e64 v30, s0, s59, v6, s0
	v_add_co_u32 v5, s0, v0, v70
	v_add_co_ci_u32_e64 v6, s0, 0, v20, s0
	s_delay_alu instid0(VALU_DEP_4) | instskip(NEXT) | instid1(VALU_DEP_1)
	v_add_co_u32 v20, s0, v21, v71
	v_add_co_ci_u32_e64 v21, s0, 0, v30, s0
	s_clause 0x4
	global_store_b8 v[7:8], v22, off
	global_store_b8 v[9:10], v23, off
	;; [unrolled: 1-line block ×5, first 2 shown]
	ds_load_u8 v0, v1 offset:11264
	s_waitcnt lgkmcnt(3)
	v_add_co_u32 v5, s0, s58, v14
	s_delay_alu instid0(VALU_DEP_1) | instskip(SKIP_2) | instid1(VALU_DEP_1)
	v_add_co_ci_u32_e64 v6, s0, s59, v15, s0
	s_waitcnt lgkmcnt(2)
	v_add_co_u32 v7, s0, s58, v16
	v_add_co_ci_u32_e64 v8, s0, s59, v17, s0
	v_add_co_u32 v5, s0, v5, v74
	s_delay_alu instid0(VALU_DEP_1) | instskip(NEXT) | instid1(VALU_DEP_4)
	v_add_co_ci_u32_e64 v6, s0, 0, v6, s0
	v_add_co_u32 v7, s0, v7, v62
	s_delay_alu instid0(VALU_DEP_1)
	v_add_co_ci_u32_e64 v8, s0, 0, v8, s0
	global_store_b8 v[5:6], v34, off
	ds_load_u8 v11, v1 offset:11776
	ds_load_u8 v12, v1 offset:12288
	;; [unrolled: 1-line block ×3, first 2 shown]
	s_waitcnt lgkmcnt(3)
	global_store_b8 v[7:8], v0, off
	v_add_co_u32 v0, s0, s58, v18
	s_delay_alu instid0(VALU_DEP_1) | instskip(SKIP_1) | instid1(VALU_DEP_1)
	v_add_co_ci_u32_e64 v6, s0, s59, v19, s0
	v_add_co_u32 v7, s0, s58, v26
	v_add_co_ci_u32_e64 v8, s0, s59, v27, s0
	s_delay_alu instid0(VALU_DEP_4) | instskip(NEXT) | instid1(VALU_DEP_1)
	v_add_co_u32 v5, s0, v0, v77
	v_add_co_ci_u32_e64 v6, s0, 0, v6, s0
	s_delay_alu instid0(VALU_DEP_4) | instskip(NEXT) | instid1(VALU_DEP_1)
	v_add_co_u32 v7, s0, v7, v72
	v_add_co_ci_u32_e64 v8, s0, 0, v8, s0
	v_add_co_u32 v0, s0, s58, v28
	s_delay_alu instid0(VALU_DEP_1) | instskip(SKIP_3) | instid1(VALU_DEP_1)
	v_add_co_ci_u32_e64 v10, s0, s59, v29, s0
	s_waitcnt lgkmcnt(2)
	global_store_b8 v[5:6], v11, off
	v_add_co_u32 v9, s0, v0, v54
	v_add_co_ci_u32_e64 v10, s0, 0, v10, s0
	s_cselect_b32 s0, -1, 0
	s_waitcnt lgkmcnt(1)
	global_store_b8 v[7:8], v12, off
	s_and_b32 s1, vcc_lo, s0
	s_waitcnt lgkmcnt(0)
	global_store_b8 v[9:10], v14, off
                                        ; implicit-def: $vgpr5_vgpr6
	s_and_saveexec_b32 s0, s1
; %bb.292:
	v_add_co_u32 v5, vcc_lo, v3, v13
	v_add_co_ci_u32_e32 v6, vcc_lo, 0, v4, vcc_lo
	s_or_b32 s4, s4, exec_lo
; %bb.293:
	s_or_b32 exec_lo, exec_lo, s0
.LBB15_294:
	s_and_saveexec_b32 s0, s4
	s_cbranch_execnz .LBB15_296
; %bb.295:
	s_nop 0
	s_sendmsg sendmsg(MSG_DEALLOC_VGPRS)
	s_endpgm
.LBB15_296:
	v_lshlrev_b32_e32 v0, 3, v1
	ds_load_b64 v[3:4], v0
	v_lshlrev_b64 v[0:1], 3, v[1:2]
	s_delay_alu instid0(VALU_DEP_1) | instskip(NEXT) | instid1(VALU_DEP_2)
	v_add_co_u32 v0, vcc_lo, s62, v0
	v_add_co_ci_u32_e32 v1, vcc_lo, s63, v1, vcc_lo
	s_waitcnt lgkmcnt(0)
	v_add_co_u32 v2, vcc_lo, v3, v5
	v_add_co_ci_u32_e32 v3, vcc_lo, v4, v6, vcc_lo
	global_store_b64 v[0:1], v[2:3], off
	s_nop 0
	s_sendmsg sendmsg(MSG_DEALLOC_VGPRS)
	s_endpgm
.LBB15_297:
	global_load_u8 v10, v[2:3], off
	s_or_b32 exec_lo, exec_lo, s48
                                        ; implicit-def: $vgpr45
	s_and_saveexec_b32 s48, s2
	s_cbranch_execz .LBB15_155
.LBB15_298:
	global_load_u8 v45, v[2:3], off offset:32
	s_or_b32 exec_lo, exec_lo, s48
                                        ; implicit-def: $vgpr46
	s_and_saveexec_b32 s2, s3
	s_cbranch_execz .LBB15_156
.LBB15_299:
	global_load_u8 v46, v[2:3], off offset:64
	s_or_b32 exec_lo, exec_lo, s2
                                        ; implicit-def: $vgpr47
	s_and_saveexec_b32 s2, s4
	s_cbranch_execz .LBB15_157
.LBB15_300:
	global_load_u8 v47, v[2:3], off offset:96
	s_or_b32 exec_lo, exec_lo, s2
                                        ; implicit-def: $vgpr48
	s_and_saveexec_b32 s2, s5
	s_cbranch_execz .LBB15_158
.LBB15_301:
	global_load_u8 v48, v[2:3], off offset:128
	s_or_b32 exec_lo, exec_lo, s2
                                        ; implicit-def: $vgpr49
	s_and_saveexec_b32 s2, s6
	s_cbranch_execz .LBB15_159
.LBB15_302:
	global_load_u8 v49, v[2:3], off offset:160
	s_or_b32 exec_lo, exec_lo, s2
                                        ; implicit-def: $vgpr50
	s_and_saveexec_b32 s2, s7
	s_cbranch_execz .LBB15_160
.LBB15_303:
	global_load_u8 v50, v[2:3], off offset:192
	s_or_b32 exec_lo, exec_lo, s2
                                        ; implicit-def: $vgpr51
	s_and_saveexec_b32 s2, s8
	s_cbranch_execz .LBB15_161
.LBB15_304:
	global_load_u8 v51, v[2:3], off offset:224
	s_or_b32 exec_lo, exec_lo, s2
                                        ; implicit-def: $vgpr52
	s_and_saveexec_b32 s2, s9
	s_cbranch_execz .LBB15_162
.LBB15_305:
	global_load_u8 v52, v[2:3], off offset:256
	s_or_b32 exec_lo, exec_lo, s2
                                        ; implicit-def: $vgpr53
	s_and_saveexec_b32 s2, s10
	s_cbranch_execz .LBB15_163
.LBB15_306:
	global_load_u8 v53, v[2:3], off offset:288
	s_or_b32 exec_lo, exec_lo, s2
                                        ; implicit-def: $vgpr54
	s_and_saveexec_b32 s2, s11
	s_cbranch_execz .LBB15_164
.LBB15_307:
	global_load_u8 v54, v[2:3], off offset:320
	s_or_b32 exec_lo, exec_lo, s2
                                        ; implicit-def: $vgpr55
	s_and_saveexec_b32 s2, s12
	s_cbranch_execz .LBB15_165
.LBB15_308:
	global_load_u8 v55, v[2:3], off offset:352
	s_or_b32 exec_lo, exec_lo, s2
                                        ; implicit-def: $vgpr56
	s_and_saveexec_b32 s2, s13
	s_cbranch_execz .LBB15_166
.LBB15_309:
	global_load_u8 v56, v[2:3], off offset:384
	s_or_b32 exec_lo, exec_lo, s2
                                        ; implicit-def: $vgpr58
	s_and_saveexec_b32 s2, s14
	s_cbranch_execz .LBB15_167
.LBB15_310:
	global_load_u8 v58, v[2:3], off offset:416
	s_or_b32 exec_lo, exec_lo, s2
                                        ; implicit-def: $vgpr61
	s_and_saveexec_b32 s2, s16
	s_cbranch_execz .LBB15_168
.LBB15_311:
	global_load_u8 v61, v[2:3], off offset:448
	s_or_b32 exec_lo, exec_lo, s2
                                        ; implicit-def: $vgpr65
	s_and_saveexec_b32 s2, s17
	s_cbranch_execz .LBB15_169
.LBB15_312:
	global_load_u8 v65, v[2:3], off offset:480
	s_or_b32 exec_lo, exec_lo, s2
                                        ; implicit-def: $vgpr68
	s_and_saveexec_b32 s2, s18
	s_cbranch_execz .LBB15_170
.LBB15_313:
	global_load_u8 v68, v[2:3], off offset:512
	s_or_b32 exec_lo, exec_lo, s2
                                        ; implicit-def: $vgpr71
	s_and_saveexec_b32 s2, s19
	s_cbranch_execz .LBB15_171
.LBB15_314:
	global_load_u8 v71, v[2:3], off offset:544
	s_or_b32 exec_lo, exec_lo, s2
                                        ; implicit-def: $vgpr74
	s_and_saveexec_b32 s2, s20
	s_cbranch_execz .LBB15_172
.LBB15_315:
	global_load_u8 v74, v[2:3], off offset:576
	s_or_b32 exec_lo, exec_lo, s2
                                        ; implicit-def: $vgpr77
	s_and_saveexec_b32 s2, s21
	s_cbranch_execz .LBB15_173
.LBB15_316:
	global_load_u8 v77, v[2:3], off offset:608
	s_or_b32 exec_lo, exec_lo, s2
                                        ; implicit-def: $vgpr81
	s_and_saveexec_b32 s2, s22
	s_cbranch_execz .LBB15_174
.LBB15_317:
	global_load_u8 v81, v[2:3], off offset:640
	s_or_b32 exec_lo, exec_lo, s2
                                        ; implicit-def: $vgpr84
	s_and_saveexec_b32 s2, s23
	s_cbranch_execz .LBB15_175
.LBB15_318:
	global_load_u8 v84, v[2:3], off offset:672
	s_or_b32 exec_lo, exec_lo, s2
                                        ; implicit-def: $vgpr85
	s_and_saveexec_b32 s2, s25
	s_cbranch_execz .LBB15_176
.LBB15_319:
	ds_load_b32 v2, v12 offset:2048
	s_waitcnt lgkmcnt(0)
	v_lshrrev_b32_e32 v2, s64, v2
	s_delay_alu instid0(VALU_DEP_1)
	v_and_b32_e32 v85, s51, v2
	s_or_b32 exec_lo, exec_lo, s2
                                        ; implicit-def: $vgpr83
	s_and_saveexec_b32 s2, s26
	s_cbranch_execz .LBB15_177
.LBB15_320:
	ds_load_b32 v2, v12 offset:4096
	s_waitcnt lgkmcnt(0)
	v_lshrrev_b32_e32 v2, s64, v2
	s_delay_alu instid0(VALU_DEP_1)
	v_and_b32_e32 v83, s51, v2
	s_or_b32 exec_lo, exec_lo, s2
                                        ; implicit-def: $vgpr82
	s_and_saveexec_b32 s2, s27
	s_cbranch_execz .LBB15_178
.LBB15_321:
	ds_load_b32 v2, v12 offset:6144
	s_waitcnt lgkmcnt(0)
	v_lshrrev_b32_e32 v2, s64, v2
	s_delay_alu instid0(VALU_DEP_1)
	v_and_b32_e32 v82, s51, v2
	s_or_b32 exec_lo, exec_lo, s2
                                        ; implicit-def: $vgpr80
	s_and_saveexec_b32 s2, s28
	s_cbranch_execz .LBB15_179
.LBB15_322:
	ds_load_b32 v2, v12 offset:8192
	s_waitcnt lgkmcnt(0)
	v_lshrrev_b32_e32 v2, s64, v2
	s_delay_alu instid0(VALU_DEP_1)
	v_and_b32_e32 v80, s51, v2
	s_or_b32 exec_lo, exec_lo, s2
                                        ; implicit-def: $vgpr79
	s_and_saveexec_b32 s2, s29
	s_cbranch_execz .LBB15_180
.LBB15_323:
	ds_load_b32 v2, v12 offset:10240
	s_waitcnt lgkmcnt(0)
	v_lshrrev_b32_e32 v2, s64, v2
	s_delay_alu instid0(VALU_DEP_1)
	v_and_b32_e32 v79, s51, v2
	s_or_b32 exec_lo, exec_lo, s2
                                        ; implicit-def: $vgpr78
	s_and_saveexec_b32 s2, s30
	s_cbranch_execz .LBB15_181
.LBB15_324:
	ds_load_b32 v2, v12 offset:12288
	s_waitcnt lgkmcnt(0)
	v_lshrrev_b32_e32 v2, s64, v2
	s_delay_alu instid0(VALU_DEP_1)
	v_and_b32_e32 v78, s51, v2
	s_or_b32 exec_lo, exec_lo, s2
                                        ; implicit-def: $vgpr76
	s_and_saveexec_b32 s2, s31
	s_cbranch_execz .LBB15_182
.LBB15_325:
	ds_load_b32 v2, v12 offset:14336
	s_waitcnt lgkmcnt(0)
	v_lshrrev_b32_e32 v2, s64, v2
	s_delay_alu instid0(VALU_DEP_1)
	v_and_b32_e32 v76, s51, v2
	s_or_b32 exec_lo, exec_lo, s2
                                        ; implicit-def: $vgpr75
	s_and_saveexec_b32 s2, s33
	s_cbranch_execz .LBB15_183
.LBB15_326:
	ds_load_b32 v2, v12 offset:16384
	s_waitcnt lgkmcnt(0)
	v_lshrrev_b32_e32 v2, s64, v2
	s_delay_alu instid0(VALU_DEP_1)
	v_and_b32_e32 v75, s51, v2
	s_or_b32 exec_lo, exec_lo, s2
                                        ; implicit-def: $vgpr73
	s_and_saveexec_b32 s2, s34
	s_cbranch_execz .LBB15_184
.LBB15_327:
	ds_load_b32 v2, v12 offset:18432
	s_waitcnt lgkmcnt(0)
	v_lshrrev_b32_e32 v2, s64, v2
	s_delay_alu instid0(VALU_DEP_1)
	v_and_b32_e32 v73, s51, v2
	s_or_b32 exec_lo, exec_lo, s2
                                        ; implicit-def: $vgpr72
	s_and_saveexec_b32 s2, s35
	s_cbranch_execz .LBB15_185
.LBB15_328:
	ds_load_b32 v2, v12 offset:20480
	s_waitcnt lgkmcnt(0)
	v_lshrrev_b32_e32 v2, s64, v2
	s_delay_alu instid0(VALU_DEP_1)
	v_and_b32_e32 v72, s51, v2
	s_or_b32 exec_lo, exec_lo, s2
                                        ; implicit-def: $vgpr70
	s_and_saveexec_b32 s2, s36
	s_cbranch_execz .LBB15_186
.LBB15_329:
	ds_load_b32 v2, v12 offset:22528
	s_waitcnt lgkmcnt(0)
	v_lshrrev_b32_e32 v2, s64, v2
	s_delay_alu instid0(VALU_DEP_1)
	v_and_b32_e32 v70, s51, v2
	s_or_b32 exec_lo, exec_lo, s2
                                        ; implicit-def: $vgpr69
	s_and_saveexec_b32 s2, s37
	s_cbranch_execz .LBB15_187
.LBB15_330:
	ds_load_b32 v2, v12 offset:24576
	s_waitcnt lgkmcnt(0)
	v_lshrrev_b32_e32 v2, s64, v2
	s_delay_alu instid0(VALU_DEP_1)
	v_and_b32_e32 v69, s51, v2
	s_or_b32 exec_lo, exec_lo, s2
                                        ; implicit-def: $vgpr67
	s_and_saveexec_b32 s2, s38
	s_cbranch_execz .LBB15_188
.LBB15_331:
	ds_load_b32 v2, v12 offset:26624
	s_waitcnt lgkmcnt(0)
	v_lshrrev_b32_e32 v2, s64, v2
	s_delay_alu instid0(VALU_DEP_1)
	v_and_b32_e32 v67, s51, v2
	s_or_b32 exec_lo, exec_lo, s2
                                        ; implicit-def: $vgpr66
	s_and_saveexec_b32 s2, s39
	s_cbranch_execz .LBB15_189
.LBB15_332:
	ds_load_b32 v2, v12 offset:28672
	s_waitcnt lgkmcnt(0)
	v_lshrrev_b32_e32 v2, s64, v2
	s_delay_alu instid0(VALU_DEP_1)
	v_and_b32_e32 v66, s51, v2
	s_or_b32 exec_lo, exec_lo, s2
                                        ; implicit-def: $vgpr64
	s_and_saveexec_b32 s2, s40
	s_cbranch_execz .LBB15_190
.LBB15_333:
	ds_load_b32 v2, v12 offset:30720
	s_waitcnt lgkmcnt(0)
	v_lshrrev_b32_e32 v2, s64, v2
	s_delay_alu instid0(VALU_DEP_1)
	v_and_b32_e32 v64, s51, v2
	s_or_b32 exec_lo, exec_lo, s2
                                        ; implicit-def: $vgpr63
	s_and_saveexec_b32 s2, s41
	s_cbranch_execz .LBB15_191
.LBB15_334:
	ds_load_b32 v2, v12 offset:32768
	s_waitcnt lgkmcnt(0)
	v_lshrrev_b32_e32 v2, s64, v2
	s_delay_alu instid0(VALU_DEP_1)
	v_and_b32_e32 v63, s51, v2
	s_or_b32 exec_lo, exec_lo, s2
                                        ; implicit-def: $vgpr62
	s_and_saveexec_b32 s2, s42
	s_cbranch_execz .LBB15_192
.LBB15_335:
	ds_load_b32 v2, v12 offset:34816
	s_waitcnt lgkmcnt(0)
	v_lshrrev_b32_e32 v2, s64, v2
	s_delay_alu instid0(VALU_DEP_1)
	v_and_b32_e32 v62, s51, v2
	s_or_b32 exec_lo, exec_lo, s2
                                        ; implicit-def: $vgpr60
	s_and_saveexec_b32 s2, s43
	s_cbranch_execz .LBB15_193
.LBB15_336:
	ds_load_b32 v2, v12 offset:36864
	s_waitcnt lgkmcnt(0)
	v_lshrrev_b32_e32 v2, s64, v2
	s_delay_alu instid0(VALU_DEP_1)
	v_and_b32_e32 v60, s51, v2
	s_or_b32 exec_lo, exec_lo, s2
                                        ; implicit-def: $vgpr59
	s_and_saveexec_b32 s2, s44
	s_cbranch_execz .LBB15_194
.LBB15_337:
	ds_load_b32 v2, v12 offset:38912
	s_waitcnt lgkmcnt(0)
	v_lshrrev_b32_e32 v2, s64, v2
	s_delay_alu instid0(VALU_DEP_1)
	v_and_b32_e32 v59, s51, v2
	s_or_b32 exec_lo, exec_lo, s2
                                        ; implicit-def: $vgpr57
	s_and_saveexec_b32 s2, s45
	s_cbranch_execz .LBB15_195
.LBB15_338:
	ds_load_b32 v2, v12 offset:40960
	s_waitcnt lgkmcnt(0)
	v_lshrrev_b32_e32 v2, s64, v2
	s_delay_alu instid0(VALU_DEP_1)
	v_and_b32_e32 v57, s51, v2
	s_or_b32 exec_lo, exec_lo, s2
                                        ; implicit-def: $vgpr3
	s_and_saveexec_b32 s2, s46
	s_cbranch_execz .LBB15_196
.LBB15_339:
	ds_load_b32 v2, v12 offset:43008
	s_waitcnt lgkmcnt(0)
	v_lshrrev_b32_e32 v2, s64, v2
	s_delay_alu instid0(VALU_DEP_1)
	v_and_b32_e32 v3, s51, v2
	s_or_b32 exec_lo, exec_lo, s2
                                        ; implicit-def: $vgpr2
	s_and_saveexec_b32 s2, s47
	s_cbranch_execnz .LBB15_197
	s_branch .LBB15_198
.LBB15_340:
	v_lshlrev_b32_e32 v10, 3, v85
	ds_load_b64 v[15:16], v10
	ds_load_u8 v10, v1 offset:2048
	s_waitcnt lgkmcnt(1)
	v_add_co_u32 v12, vcc_lo, s58, v15
	v_add_co_ci_u32_e32 v16, vcc_lo, s59, v16, vcc_lo
	s_delay_alu instid0(VALU_DEP_2) | instskip(NEXT) | instid1(VALU_DEP_2)
	v_add_co_u32 v15, vcc_lo, v12, v1
	v_add_co_ci_u32_e32 v16, vcc_lo, 0, v16, vcc_lo
	s_waitcnt lgkmcnt(0)
	global_store_b8 v[15:16], v10, off
	s_or_b32 exec_lo, exec_lo, s2
	s_and_saveexec_b32 s2, s26
	s_cbranch_execz .LBB15_200
.LBB15_341:
	v_lshlrev_b32_e32 v10, 3, v83
	ds_load_b64 v[15:16], v10
	ds_load_u8 v10, v1 offset:2560
	s_waitcnt lgkmcnt(1)
	v_add_co_u32 v12, vcc_lo, s58, v15
	v_add_co_ci_u32_e32 v16, vcc_lo, s59, v16, vcc_lo
	s_delay_alu instid0(VALU_DEP_2) | instskip(NEXT) | instid1(VALU_DEP_2)
	v_add_co_u32 v15, vcc_lo, v12, v1
	v_add_co_ci_u32_e32 v16, vcc_lo, 0, v16, vcc_lo
	s_waitcnt lgkmcnt(0)
	global_store_b8 v[15:16], v10, off offset:512
	s_or_b32 exec_lo, exec_lo, s2
	s_and_saveexec_b32 s2, s27
	s_cbranch_execz .LBB15_201
.LBB15_342:
	v_lshlrev_b32_e32 v10, 3, v82
	ds_load_b64 v[15:16], v10
	ds_load_u8 v10, v1 offset:3072
	s_waitcnt lgkmcnt(1)
	v_add_co_u32 v12, vcc_lo, s58, v15
	v_add_co_ci_u32_e32 v16, vcc_lo, s59, v16, vcc_lo
	s_delay_alu instid0(VALU_DEP_2) | instskip(NEXT) | instid1(VALU_DEP_2)
	v_add_co_u32 v15, vcc_lo, v12, v1
	v_add_co_ci_u32_e32 v16, vcc_lo, 0, v16, vcc_lo
	s_waitcnt lgkmcnt(0)
	global_store_b8 v[15:16], v10, off offset:1024
	s_or_b32 exec_lo, exec_lo, s2
	s_and_saveexec_b32 s2, s28
	s_cbranch_execz .LBB15_202
.LBB15_343:
	v_lshlrev_b32_e32 v10, 3, v80
	ds_load_b64 v[15:16], v10
	ds_load_u8 v10, v1 offset:3584
	s_waitcnt lgkmcnt(1)
	v_add_co_u32 v12, vcc_lo, s58, v15
	v_add_co_ci_u32_e32 v16, vcc_lo, s59, v16, vcc_lo
	s_delay_alu instid0(VALU_DEP_2) | instskip(NEXT) | instid1(VALU_DEP_2)
	v_add_co_u32 v15, vcc_lo, v12, v1
	v_add_co_ci_u32_e32 v16, vcc_lo, 0, v16, vcc_lo
	s_waitcnt lgkmcnt(0)
	global_store_b8 v[15:16], v10, off offset:1536
	s_or_b32 exec_lo, exec_lo, s2
	s_and_saveexec_b32 s2, s29
	s_cbranch_execz .LBB15_203
.LBB15_344:
	v_lshlrev_b32_e32 v10, 3, v79
	ds_load_b64 v[15:16], v10
	ds_load_u8 v10, v1 offset:4096
	s_waitcnt lgkmcnt(1)
	v_add_co_u32 v12, vcc_lo, s58, v15
	v_add_co_ci_u32_e32 v16, vcc_lo, s59, v16, vcc_lo
	s_delay_alu instid0(VALU_DEP_2) | instskip(NEXT) | instid1(VALU_DEP_2)
	v_add_co_u32 v15, vcc_lo, v12, v1
	v_add_co_ci_u32_e32 v16, vcc_lo, 0, v16, vcc_lo
	s_waitcnt lgkmcnt(0)
	global_store_b8 v[15:16], v10, off offset:2048
	s_or_b32 exec_lo, exec_lo, s2
	s_and_saveexec_b32 s2, s30
	s_cbranch_execz .LBB15_204
.LBB15_345:
	v_lshlrev_b32_e32 v10, 3, v78
	ds_load_b64 v[15:16], v10
	ds_load_u8 v10, v1 offset:4608
	s_waitcnt lgkmcnt(1)
	v_add_co_u32 v12, vcc_lo, s58, v15
	v_add_co_ci_u32_e32 v16, vcc_lo, s59, v16, vcc_lo
	s_delay_alu instid0(VALU_DEP_2) | instskip(NEXT) | instid1(VALU_DEP_2)
	v_add_co_u32 v15, vcc_lo, v12, v1
	v_add_co_ci_u32_e32 v16, vcc_lo, 0, v16, vcc_lo
	s_waitcnt lgkmcnt(0)
	global_store_b8 v[15:16], v10, off offset:2560
	s_or_b32 exec_lo, exec_lo, s2
	s_and_saveexec_b32 s2, s31
	s_cbranch_execz .LBB15_205
.LBB15_346:
	v_lshlrev_b32_e32 v10, 3, v76
	ds_load_b64 v[15:16], v10
	ds_load_u8 v10, v1 offset:5120
	s_waitcnt lgkmcnt(1)
	v_add_co_u32 v12, vcc_lo, s58, v15
	v_add_co_ci_u32_e32 v16, vcc_lo, s59, v16, vcc_lo
	s_delay_alu instid0(VALU_DEP_2) | instskip(NEXT) | instid1(VALU_DEP_2)
	v_add_co_u32 v15, vcc_lo, v12, v1
	v_add_co_ci_u32_e32 v16, vcc_lo, 0, v16, vcc_lo
	s_waitcnt lgkmcnt(0)
	global_store_b8 v[15:16], v10, off offset:3072
	s_or_b32 exec_lo, exec_lo, s2
	s_and_saveexec_b32 s2, s33
	s_cbranch_execz .LBB15_206
.LBB15_347:
	v_lshlrev_b32_e32 v10, 3, v75
	ds_load_b64 v[15:16], v10
	ds_load_u8 v10, v1 offset:5632
	s_waitcnt lgkmcnt(1)
	v_add_co_u32 v12, vcc_lo, s58, v15
	v_add_co_ci_u32_e32 v16, vcc_lo, s59, v16, vcc_lo
	s_delay_alu instid0(VALU_DEP_2) | instskip(NEXT) | instid1(VALU_DEP_2)
	v_add_co_u32 v15, vcc_lo, v12, v1
	v_add_co_ci_u32_e32 v16, vcc_lo, 0, v16, vcc_lo
	s_waitcnt lgkmcnt(0)
	global_store_b8 v[15:16], v10, off offset:3584
	s_or_b32 exec_lo, exec_lo, s2
	s_and_saveexec_b32 s2, s34
	s_cbranch_execz .LBB15_207
.LBB15_348:
	v_lshlrev_b32_e32 v10, 3, v73
	ds_load_b64 v[15:16], v10
	ds_load_u8 v10, v1 offset:6144
	s_waitcnt lgkmcnt(1)
	v_add_co_u32 v12, vcc_lo, s58, v15
	v_add_co_ci_u32_e32 v16, vcc_lo, s59, v16, vcc_lo
	s_delay_alu instid0(VALU_DEP_2) | instskip(NEXT) | instid1(VALU_DEP_2)
	v_add_co_u32 v15, vcc_lo, v12, v4
	v_add_co_ci_u32_e32 v16, vcc_lo, 0, v16, vcc_lo
	s_waitcnt lgkmcnt(0)
	global_store_b8 v[15:16], v10, off
	s_or_b32 exec_lo, exec_lo, s2
	s_and_saveexec_b32 s2, s35
	s_cbranch_execz .LBB15_208
.LBB15_349:
	v_lshlrev_b32_e32 v4, 3, v72
	ds_load_b64 v[15:16], v4
	ds_load_u8 v10, v1 offset:6656
	s_waitcnt lgkmcnt(1)
	v_add_co_u32 v4, vcc_lo, s58, v15
	v_add_co_ci_u32_e32 v12, vcc_lo, s59, v16, vcc_lo
	s_delay_alu instid0(VALU_DEP_2) | instskip(NEXT) | instid1(VALU_DEP_2)
	v_add_co_u32 v4, vcc_lo, v4, v5
	v_add_co_ci_u32_e32 v5, vcc_lo, 0, v12, vcc_lo
	s_waitcnt lgkmcnt(0)
	global_store_b8 v[4:5], v10, off
	s_or_b32 exec_lo, exec_lo, s2
	s_and_saveexec_b32 s2, s36
	s_cbranch_execz .LBB15_209
.LBB15_350:
	v_lshlrev_b32_e32 v4, 3, v70
	ds_load_b64 v[4:5], v4
	ds_load_u8 v10, v1 offset:7168
	s_waitcnt lgkmcnt(1)
	v_add_co_u32 v4, vcc_lo, s58, v4
	v_add_co_ci_u32_e32 v5, vcc_lo, s59, v5, vcc_lo
	s_delay_alu instid0(VALU_DEP_2) | instskip(NEXT) | instid1(VALU_DEP_2)
	v_add_co_u32 v4, vcc_lo, v4, v6
	v_add_co_ci_u32_e32 v5, vcc_lo, 0, v5, vcc_lo
	s_waitcnt lgkmcnt(0)
	global_store_b8 v[4:5], v10, off
	s_or_b32 exec_lo, exec_lo, s2
	s_and_saveexec_b32 s2, s37
	s_cbranch_execz .LBB15_210
.LBB15_351:
	v_lshlrev_b32_e32 v4, 3, v69
	ds_load_b64 v[4:5], v4
	ds_load_u8 v6, v1 offset:7680
	s_waitcnt lgkmcnt(1)
	v_add_co_u32 v4, vcc_lo, s58, v4
	v_add_co_ci_u32_e32 v5, vcc_lo, s59, v5, vcc_lo
	s_delay_alu instid0(VALU_DEP_2) | instskip(NEXT) | instid1(VALU_DEP_2)
	v_add_co_u32 v4, vcc_lo, v4, v7
	v_add_co_ci_u32_e32 v5, vcc_lo, 0, v5, vcc_lo
	s_waitcnt lgkmcnt(0)
	global_store_b8 v[4:5], v6, off
	s_or_b32 exec_lo, exec_lo, s2
	s_and_saveexec_b32 s2, s38
	s_cbranch_execz .LBB15_211
.LBB15_352:
	v_lshlrev_b32_e32 v4, 3, v67
	ds_load_b64 v[4:5], v4
	ds_load_u8 v6, v1 offset:8192
	s_waitcnt lgkmcnt(1)
	v_add_co_u32 v4, vcc_lo, s58, v4
	v_add_co_ci_u32_e32 v5, vcc_lo, s59, v5, vcc_lo
	s_delay_alu instid0(VALU_DEP_2) | instskip(NEXT) | instid1(VALU_DEP_2)
	v_add_co_u32 v4, vcc_lo, v4, v13
	v_add_co_ci_u32_e32 v5, vcc_lo, 0, v5, vcc_lo
	s_waitcnt lgkmcnt(0)
	global_store_b8 v[4:5], v6, off
	s_or_b32 exec_lo, exec_lo, s2
	s_and_saveexec_b32 s2, s39
	s_cbranch_execz .LBB15_212
.LBB15_353:
	v_lshlrev_b32_e32 v4, 3, v66
	ds_load_b64 v[4:5], v4
	ds_load_u8 v6, v1 offset:8704
	s_waitcnt lgkmcnt(1)
	v_add_co_u32 v4, vcc_lo, s58, v4
	v_add_co_ci_u32_e32 v5, vcc_lo, s59, v5, vcc_lo
	s_delay_alu instid0(VALU_DEP_2) | instskip(NEXT) | instid1(VALU_DEP_2)
	v_add_co_u32 v4, vcc_lo, v4, v14
	v_add_co_ci_u32_e32 v5, vcc_lo, 0, v5, vcc_lo
	s_waitcnt lgkmcnt(0)
	global_store_b8 v[4:5], v6, off
	s_or_b32 exec_lo, exec_lo, s2
	s_and_saveexec_b32 s2, s40
	s_cbranch_execz .LBB15_213
.LBB15_354:
	v_lshlrev_b32_e32 v4, 3, v64
	ds_load_b64 v[4:5], v4
	ds_load_u8 v6, v1 offset:9216
	s_waitcnt lgkmcnt(1)
	v_add_co_u32 v4, vcc_lo, s58, v4
	v_add_co_ci_u32_e32 v5, vcc_lo, s59, v5, vcc_lo
	s_delay_alu instid0(VALU_DEP_2) | instskip(NEXT) | instid1(VALU_DEP_2)
	v_add_co_u32 v4, vcc_lo, v4, v18
	v_add_co_ci_u32_e32 v5, vcc_lo, 0, v5, vcc_lo
	s_waitcnt lgkmcnt(0)
	global_store_b8 v[4:5], v6, off
	s_or_b32 exec_lo, exec_lo, s2
	s_and_saveexec_b32 s2, s41
	s_cbranch_execz .LBB15_214
.LBB15_355:
	v_lshlrev_b32_e32 v4, 3, v63
	ds_load_b64 v[4:5], v4
	ds_load_u8 v6, v1 offset:9728
	s_waitcnt lgkmcnt(1)
	v_add_co_u32 v4, vcc_lo, s58, v4
	v_add_co_ci_u32_e32 v5, vcc_lo, s59, v5, vcc_lo
	s_delay_alu instid0(VALU_DEP_2) | instskip(NEXT) | instid1(VALU_DEP_2)
	v_add_co_u32 v4, vcc_lo, v4, v22
	v_add_co_ci_u32_e32 v5, vcc_lo, 0, v5, vcc_lo
	s_waitcnt lgkmcnt(0)
	global_store_b8 v[4:5], v6, off
	s_or_b32 exec_lo, exec_lo, s2
	s_and_saveexec_b32 s2, s42
	s_cbranch_execz .LBB15_215
.LBB15_356:
	v_lshlrev_b32_e32 v4, 3, v62
	ds_load_b64 v[4:5], v4
	ds_load_u8 v6, v1 offset:10240
	s_waitcnt lgkmcnt(1)
	v_add_co_u32 v4, vcc_lo, s58, v4
	v_add_co_ci_u32_e32 v5, vcc_lo, s59, v5, vcc_lo
	s_delay_alu instid0(VALU_DEP_2) | instskip(NEXT) | instid1(VALU_DEP_2)
	v_add_co_u32 v4, vcc_lo, v4, v26
	v_add_co_ci_u32_e32 v5, vcc_lo, 0, v5, vcc_lo
	s_waitcnt lgkmcnt(0)
	global_store_b8 v[4:5], v6, off
	s_or_b32 exec_lo, exec_lo, s2
	s_and_saveexec_b32 s2, s43
	s_cbranch_execz .LBB15_216
.LBB15_357:
	v_lshlrev_b32_e32 v4, 3, v60
	ds_load_b64 v[4:5], v4
	ds_load_u8 v6, v1 offset:10752
	s_waitcnt lgkmcnt(1)
	v_add_co_u32 v4, vcc_lo, s58, v4
	v_add_co_ci_u32_e32 v5, vcc_lo, s59, v5, vcc_lo
	s_delay_alu instid0(VALU_DEP_2) | instskip(NEXT) | instid1(VALU_DEP_2)
	v_add_co_u32 v4, vcc_lo, v4, v30
	v_add_co_ci_u32_e32 v5, vcc_lo, 0, v5, vcc_lo
	s_waitcnt lgkmcnt(0)
	global_store_b8 v[4:5], v6, off
	s_or_b32 exec_lo, exec_lo, s2
	s_and_saveexec_b32 s2, s44
	s_cbranch_execz .LBB15_217
.LBB15_358:
	v_lshlrev_b32_e32 v4, 3, v59
	ds_load_b64 v[4:5], v4
	ds_load_u8 v6, v1 offset:11264
	s_waitcnt lgkmcnt(1)
	v_add_co_u32 v4, vcc_lo, s58, v4
	v_add_co_ci_u32_e32 v5, vcc_lo, s59, v5, vcc_lo
	s_delay_alu instid0(VALU_DEP_2) | instskip(NEXT) | instid1(VALU_DEP_2)
	v_add_co_u32 v4, vcc_lo, v4, v34
	v_add_co_ci_u32_e32 v5, vcc_lo, 0, v5, vcc_lo
	s_waitcnt lgkmcnt(0)
	global_store_b8 v[4:5], v6, off
	s_or_b32 exec_lo, exec_lo, s2
	s_and_saveexec_b32 s2, s45
	s_cbranch_execz .LBB15_218
.LBB15_359:
	v_lshlrev_b32_e32 v4, 3, v57
	ds_load_b64 v[4:5], v4
	ds_load_u8 v6, v1 offset:11776
	s_waitcnt lgkmcnt(1)
	v_add_co_u32 v4, vcc_lo, s58, v4
	v_add_co_ci_u32_e32 v5, vcc_lo, s59, v5, vcc_lo
	s_delay_alu instid0(VALU_DEP_2) | instskip(NEXT) | instid1(VALU_DEP_2)
	v_add_co_u32 v4, vcc_lo, v4, v38
	v_add_co_ci_u32_e32 v5, vcc_lo, 0, v5, vcc_lo
	s_waitcnt lgkmcnt(0)
	global_store_b8 v[4:5], v6, off
	s_or_b32 exec_lo, exec_lo, s2
	s_and_saveexec_b32 s2, s46
	s_cbranch_execz .LBB15_219
.LBB15_360:
	v_lshlrev_b32_e32 v3, 3, v3
	ds_load_b64 v[3:4], v3
	ds_load_u8 v5, v1 offset:12288
	s_waitcnt lgkmcnt(1)
	v_add_co_u32 v3, vcc_lo, s58, v3
	v_add_co_ci_u32_e32 v4, vcc_lo, s59, v4, vcc_lo
	s_delay_alu instid0(VALU_DEP_2) | instskip(NEXT) | instid1(VALU_DEP_2)
	v_add_co_u32 v3, vcc_lo, v3, v43
	v_add_co_ci_u32_e32 v4, vcc_lo, 0, v4, vcc_lo
	s_waitcnt lgkmcnt(0)
	global_store_b8 v[3:4], v5, off
	s_or_b32 exec_lo, exec_lo, s2
	s_and_saveexec_b32 s2, s47
	s_cbranch_execnz .LBB15_220
	s_branch .LBB15_221
	.section	.rodata,"a",@progbits
	.p2align	6, 0x0
	.amdhsa_kernel _ZN7rocprim17ROCPRIM_304000_NS6detail25onesweep_iteration_kernelINS1_34wrapped_radix_sort_onesweep_configINS0_14default_configEiN2at4cuda3cub6detail10OpaqueTypeILi1EEEEELb1EPiSC_PSA_SD_mNS0_19identity_decomposerEEEvT1_T2_T3_T4_jPT5_SK_PNS1_23onesweep_lookback_stateET6_jjj
		.amdhsa_group_segment_fixed_size 47104
		.amdhsa_private_segment_fixed_size 0
		.amdhsa_kernarg_size 336
		.amdhsa_user_sgpr_count 15
		.amdhsa_user_sgpr_dispatch_ptr 0
		.amdhsa_user_sgpr_queue_ptr 0
		.amdhsa_user_sgpr_kernarg_segment_ptr 1
		.amdhsa_user_sgpr_dispatch_id 0
		.amdhsa_user_sgpr_private_segment_size 0
		.amdhsa_wavefront_size32 1
		.amdhsa_uses_dynamic_stack 0
		.amdhsa_enable_private_segment 0
		.amdhsa_system_sgpr_workgroup_id_x 1
		.amdhsa_system_sgpr_workgroup_id_y 0
		.amdhsa_system_sgpr_workgroup_id_z 0
		.amdhsa_system_sgpr_workgroup_info 0
		.amdhsa_system_vgpr_workitem_id 2
		.amdhsa_next_free_vgpr 106
		.amdhsa_next_free_sgpr 70
		.amdhsa_reserve_vcc 1
		.amdhsa_float_round_mode_32 0
		.amdhsa_float_round_mode_16_64 0
		.amdhsa_float_denorm_mode_32 3
		.amdhsa_float_denorm_mode_16_64 3
		.amdhsa_dx10_clamp 1
		.amdhsa_ieee_mode 1
		.amdhsa_fp16_overflow 0
		.amdhsa_workgroup_processor_mode 1
		.amdhsa_memory_ordered 1
		.amdhsa_forward_progress 0
		.amdhsa_shared_vgpr_count 0
		.amdhsa_exception_fp_ieee_invalid_op 0
		.amdhsa_exception_fp_denorm_src 0
		.amdhsa_exception_fp_ieee_div_zero 0
		.amdhsa_exception_fp_ieee_overflow 0
		.amdhsa_exception_fp_ieee_underflow 0
		.amdhsa_exception_fp_ieee_inexact 0
		.amdhsa_exception_int_div_zero 0
	.end_amdhsa_kernel
	.section	.text._ZN7rocprim17ROCPRIM_304000_NS6detail25onesweep_iteration_kernelINS1_34wrapped_radix_sort_onesweep_configINS0_14default_configEiN2at4cuda3cub6detail10OpaqueTypeILi1EEEEELb1EPiSC_PSA_SD_mNS0_19identity_decomposerEEEvT1_T2_T3_T4_jPT5_SK_PNS1_23onesweep_lookback_stateET6_jjj,"axG",@progbits,_ZN7rocprim17ROCPRIM_304000_NS6detail25onesweep_iteration_kernelINS1_34wrapped_radix_sort_onesweep_configINS0_14default_configEiN2at4cuda3cub6detail10OpaqueTypeILi1EEEEELb1EPiSC_PSA_SD_mNS0_19identity_decomposerEEEvT1_T2_T3_T4_jPT5_SK_PNS1_23onesweep_lookback_stateET6_jjj,comdat
.Lfunc_end15:
	.size	_ZN7rocprim17ROCPRIM_304000_NS6detail25onesweep_iteration_kernelINS1_34wrapped_radix_sort_onesweep_configINS0_14default_configEiN2at4cuda3cub6detail10OpaqueTypeILi1EEEEELb1EPiSC_PSA_SD_mNS0_19identity_decomposerEEEvT1_T2_T3_T4_jPT5_SK_PNS1_23onesweep_lookback_stateET6_jjj, .Lfunc_end15-_ZN7rocprim17ROCPRIM_304000_NS6detail25onesweep_iteration_kernelINS1_34wrapped_radix_sort_onesweep_configINS0_14default_configEiN2at4cuda3cub6detail10OpaqueTypeILi1EEEEELb1EPiSC_PSA_SD_mNS0_19identity_decomposerEEEvT1_T2_T3_T4_jPT5_SK_PNS1_23onesweep_lookback_stateET6_jjj
                                        ; -- End function
	.section	.AMDGPU.csdata,"",@progbits
; Kernel info:
; codeLenInByte = 32156
; NumSgprs: 72
; NumVgprs: 106
; ScratchSize: 0
; MemoryBound: 0
; FloatMode: 240
; IeeeMode: 1
; LDSByteSize: 47104 bytes/workgroup (compile time only)
; SGPRBlocks: 8
; VGPRBlocks: 13
; NumSGPRsForWavesPerEU: 72
; NumVGPRsForWavesPerEU: 106
; Occupancy: 8
; WaveLimiterHint : 1
; COMPUTE_PGM_RSRC2:SCRATCH_EN: 0
; COMPUTE_PGM_RSRC2:USER_SGPR: 15
; COMPUTE_PGM_RSRC2:TRAP_HANDLER: 0
; COMPUTE_PGM_RSRC2:TGID_X_EN: 1
; COMPUTE_PGM_RSRC2:TGID_Y_EN: 0
; COMPUTE_PGM_RSRC2:TGID_Z_EN: 0
; COMPUTE_PGM_RSRC2:TIDIG_COMP_CNT: 2
	.section	.text._ZN7rocprim17ROCPRIM_304000_NS6detail28radix_sort_block_sort_kernelINS1_36wrapped_radix_sort_block_sort_configINS0_13kernel_configILj256ELj4ELj4294967295EEEiN2at4cuda3cub6detail10OpaqueTypeILi1EEEEELb0EPKiPiPKSB_PSB_NS0_19identity_decomposerEEEvT1_T2_T3_T4_jT5_jj,"axG",@progbits,_ZN7rocprim17ROCPRIM_304000_NS6detail28radix_sort_block_sort_kernelINS1_36wrapped_radix_sort_block_sort_configINS0_13kernel_configILj256ELj4ELj4294967295EEEiN2at4cuda3cub6detail10OpaqueTypeILi1EEEEELb0EPKiPiPKSB_PSB_NS0_19identity_decomposerEEEvT1_T2_T3_T4_jT5_jj,comdat
	.protected	_ZN7rocprim17ROCPRIM_304000_NS6detail28radix_sort_block_sort_kernelINS1_36wrapped_radix_sort_block_sort_configINS0_13kernel_configILj256ELj4ELj4294967295EEEiN2at4cuda3cub6detail10OpaqueTypeILi1EEEEELb0EPKiPiPKSB_PSB_NS0_19identity_decomposerEEEvT1_T2_T3_T4_jT5_jj ; -- Begin function _ZN7rocprim17ROCPRIM_304000_NS6detail28radix_sort_block_sort_kernelINS1_36wrapped_radix_sort_block_sort_configINS0_13kernel_configILj256ELj4ELj4294967295EEEiN2at4cuda3cub6detail10OpaqueTypeILi1EEEEELb0EPKiPiPKSB_PSB_NS0_19identity_decomposerEEEvT1_T2_T3_T4_jT5_jj
	.globl	_ZN7rocprim17ROCPRIM_304000_NS6detail28radix_sort_block_sort_kernelINS1_36wrapped_radix_sort_block_sort_configINS0_13kernel_configILj256ELj4ELj4294967295EEEiN2at4cuda3cub6detail10OpaqueTypeILi1EEEEELb0EPKiPiPKSB_PSB_NS0_19identity_decomposerEEEvT1_T2_T3_T4_jT5_jj
	.p2align	8
	.type	_ZN7rocprim17ROCPRIM_304000_NS6detail28radix_sort_block_sort_kernelINS1_36wrapped_radix_sort_block_sort_configINS0_13kernel_configILj256ELj4ELj4294967295EEEiN2at4cuda3cub6detail10OpaqueTypeILi1EEEEELb0EPKiPiPKSB_PSB_NS0_19identity_decomposerEEEvT1_T2_T3_T4_jT5_jj,@function
_ZN7rocprim17ROCPRIM_304000_NS6detail28radix_sort_block_sort_kernelINS1_36wrapped_radix_sort_block_sort_configINS0_13kernel_configILj256ELj4ELj4294967295EEEiN2at4cuda3cub6detail10OpaqueTypeILi1EEEEELb0EPKiPiPKSB_PSB_NS0_19identity_decomposerEEEvT1_T2_T3_T4_jT5_jj: ; @_ZN7rocprim17ROCPRIM_304000_NS6detail28radix_sort_block_sort_kernelINS1_36wrapped_radix_sort_block_sort_configINS0_13kernel_configILj256ELj4ELj4294967295EEEiN2at4cuda3cub6detail10OpaqueTypeILi1EEEEELb0EPKiPiPKSB_PSB_NS0_19identity_decomposerEEEvT1_T2_T3_T4_jT5_jj
; %bb.0:
	s_clause 0x1
	s_load_b32 s2, s[0:1], 0x20
	s_load_b256 s[16:23], s[0:1], 0x0
	v_and_b32_e32 v8, 0x3ff, v0
	v_mbcnt_lo_u32_b32 v9, -1, 0
	s_lshl_b32 s24, s15, 10
	s_mov_b32 s25, 0
	s_delay_alu instid0(VALU_DEP_2) | instskip(NEXT) | instid1(VALU_DEP_2)
	v_lshlrev_b32_e32 v13, 2, v8
	v_lshlrev_b32_e32 v1, 2, v9
	s_delay_alu instid0(VALU_DEP_2) | instskip(NEXT) | instid1(VALU_DEP_1)
	v_and_b32_e32 v11, 0x380, v13
	v_lshlrev_b32_e32 v2, 2, v11
	v_add_nc_u32_e32 v10, v9, v11
	s_waitcnt lgkmcnt(0)
	s_lshr_b32 s3, s2, 10
	s_delay_alu instid0(SALU_CYCLE_1) | instskip(SKIP_2) | instid1(SALU_CYCLE_1)
	s_cmp_lg_u32 s15, s3
	s_cselect_b32 s28, -1, 0
	s_lshl_b64 s[26:27], s[24:25], 2
	s_add_u32 s4, s16, s26
	s_addc_u32 s5, s17, s27
	v_add_co_u32 v1, s4, s4, v1
	s_delay_alu instid0(VALU_DEP_1) | instskip(SKIP_1) | instid1(VALU_DEP_2)
	v_add_co_ci_u32_e64 v3, null, s5, 0, s4
	s_cmp_eq_u32 s15, s3
	v_add_co_u32 v5, vcc_lo, v1, v2
	s_delay_alu instid0(VALU_DEP_2)
	v_add_co_ci_u32_e32 v6, vcc_lo, 0, v3, vcc_lo
	s_mov_b32 s3, -1
	s_cbranch_scc1 .LBB16_2
; %bb.1:
	s_add_u32 s3, s20, s24
	s_addc_u32 s4, s21, 0
	v_add_co_u32 v1, s3, s3, v9
	s_delay_alu instid0(VALU_DEP_1) | instskip(SKIP_1) | instid1(VALU_DEP_3)
	v_add_co_ci_u32_e64 v2, null, s4, 0, s3
	v_add_nc_u32_e32 v17, v9, v11
	v_add_co_u32 v14, vcc_lo, v1, v11
	s_delay_alu instid0(VALU_DEP_3)
	v_add_co_ci_u32_e32 v15, vcc_lo, 0, v2, vcc_lo
	s_clause 0x3
	global_load_b32 v1, v[5:6], off
	global_load_b32 v2, v[5:6], off offset:128
	global_load_b32 v3, v[5:6], off offset:256
	;; [unrolled: 1-line block ×3, first 2 shown]
	s_clause 0x3
	global_load_u8 v7, v[14:15], off
	global_load_u8 v37, v[14:15], off offset:32
	global_load_u8 v38, v[14:15], off offset:64
	;; [unrolled: 1-line block ×3, first 2 shown]
	v_add_nc_u32_e32 v14, 32, v17
	v_add_nc_u32_e32 v15, 64, v17
	;; [unrolled: 1-line block ×3, first 2 shown]
	s_mov_b32 s3, s25
	s_delay_alu instid0(SALU_CYCLE_1)
	s_and_not1_b32 vcc_lo, exec_lo, s3
	s_sub_i32 s16, s2, s24
	s_cbranch_vccz .LBB16_3
	s_branch .LBB16_17
.LBB16_2:
                                        ; implicit-def: $vgpr1_vgpr2_vgpr3_vgpr4
                                        ; implicit-def: $vgpr7
                                        ; implicit-def: $vgpr37
                                        ; implicit-def: $vgpr38
                                        ; implicit-def: $vgpr39
                                        ; implicit-def: $vgpr17
                                        ; implicit-def: $vgpr14
                                        ; implicit-def: $vgpr15
                                        ; implicit-def: $vgpr16
	s_and_not1_b32 vcc_lo, exec_lo, s3
	s_sub_i32 s16, s2, s24
	s_cbranch_vccnz .LBB16_17
.LBB16_3:
	s_brev_b32 s4, -2
	v_cmp_gt_u32_e32 vcc_lo, s16, v10
	s_mov_b32 s5, s4
	s_mov_b32 s6, s4
	;; [unrolled: 1-line block ×3, first 2 shown]
	s_waitcnt vmcnt(4)
	v_dual_mov_b32 v1, s4 :: v_dual_mov_b32 v2, s5
	v_dual_mov_b32 v3, s6 :: v_dual_mov_b32 v4, s7
	s_and_saveexec_b32 s2, vcc_lo
	s_cbranch_execz .LBB16_5
; %bb.4:
	global_load_b32 v1, v[5:6], off
	v_bfrev_b32_e32 v2, -2
	s_delay_alu instid0(VALU_DEP_1)
	v_mov_b32_e32 v3, v2
	v_mov_b32_e32 v4, v2
.LBB16_5:
	s_or_b32 exec_lo, exec_lo, s2
	v_add_nc_u32_e32 v14, 32, v10
	s_delay_alu instid0(VALU_DEP_1) | instskip(NEXT) | instid1(VALU_DEP_1)
	v_cmp_gt_u32_e64 s2, s16, v14
	s_and_saveexec_b32 s3, s2
	s_cbranch_execz .LBB16_7
; %bb.6:
	global_load_b32 v2, v[5:6], off offset:128
.LBB16_7:
	s_or_b32 exec_lo, exec_lo, s3
	v_add_nc_u32_e32 v15, 64, v10
	s_delay_alu instid0(VALU_DEP_1) | instskip(NEXT) | instid1(VALU_DEP_1)
	v_cmp_gt_u32_e64 s3, s16, v15
	s_and_saveexec_b32 s4, s3
	s_cbranch_execz .LBB16_9
; %bb.8:
	global_load_b32 v3, v[5:6], off offset:256
.LBB16_9:
	;; [unrolled: 9-line block ×3, first 2 shown]
	s_or_b32 exec_lo, exec_lo, s5
	s_add_u32 s5, s20, s24
	s_addc_u32 s6, s21, 0
	v_add_co_u32 v5, s5, s5, v9
	s_delay_alu instid0(VALU_DEP_1) | instskip(NEXT) | instid1(VALU_DEP_2)
	v_add_co_ci_u32_e64 v6, null, s6, 0, s5
                                        ; implicit-def: $vgpr7
	v_add_co_u32 v5, s5, v5, v11
	s_delay_alu instid0(VALU_DEP_1)
	v_add_co_ci_u32_e64 v6, s5, 0, v6, s5
	s_and_saveexec_b32 s5, vcc_lo
	s_cbranch_execnz .LBB16_54
; %bb.12:
	s_or_b32 exec_lo, exec_lo, s5
                                        ; implicit-def: $vgpr37
	s_and_saveexec_b32 s5, s2
	s_cbranch_execnz .LBB16_55
.LBB16_13:
	s_or_b32 exec_lo, exec_lo, s5
                                        ; implicit-def: $vgpr38
	s_and_saveexec_b32 s2, s3
	s_cbranch_execnz .LBB16_56
.LBB16_14:
	s_or_b32 exec_lo, exec_lo, s2
                                        ; implicit-def: $vgpr39
	s_and_saveexec_b32 s2, s4
	s_cbranch_execz .LBB16_16
.LBB16_15:
	global_load_u8 v39, v[5:6], off offset:96
.LBB16_16:
	s_or_b32 exec_lo, exec_lo, s2
	v_mov_b32_e32 v17, v10
.LBB16_17:
	s_clause 0x1
	s_load_b32 s4, s[0:1], 0x3c
	s_load_b64 s[14:15], s[0:1], 0x28
	s_waitcnt vmcnt(0)
	v_xor_b32_e32 v5, 0x80000000, v1
	v_xor_b32_e32 v1, 0x80000000, v2
	;; [unrolled: 1-line block ×4, first 2 shown]
	v_bfe_u32 v4, v0, 10, 10
	v_bfe_u32 v0, v0, 20, 10
	v_and_b32_e32 v10, 0x3e0, v8
	v_add_nc_u32_e32 v20, -1, v9
	v_lshrrev_b32_e32 v23, 3, v8
	s_mov_b32 s20, 0
	v_and_b32_e32 v12, 16, v9
	v_and_b32_e32 v24, 7, v9
	v_cmp_gt_i32_e32 vcc_lo, 0, v20
	s_mov_b32 s21, s20
	v_lshlrev_b32_e32 v18, 5, v8
	s_mov_b32 s30, s20
	s_mov_b32 s31, s20
	v_and_b32_e32 v6, 15, v9
	s_waitcnt lgkmcnt(0)
	s_lshr_b32 s3, s4, 16
	s_and_b32 s4, s4, 0xffff
	v_mad_u32_u24 v0, v0, s3, v4
	v_min_u32_e32 v4, 0xe0, v10
	v_cmp_eq_u32_e64 s6, 0, v12
	v_cmp_eq_u32_e64 s8, 0, v9
	v_cmp_gt_u32_e64 s0, 8, v8
	v_mad_u64_u32 v[10:11], null, v0, s4, v[8:9]
	v_dual_mov_b32 v11, s30 :: v_dual_cndmask_b32 v0, v20, v9
	v_and_b32_e32 v23, 0x7c, v23
	v_or_b32_e32 v4, 31, v4
	v_cmp_lt_u32_e64 s1, 31, v8
	v_cmp_eq_u32_e64 s2, 0, v6
	v_lshrrev_b32_e32 v22, 5, v10
	v_mov_b32_e32 v9, s20
	v_dual_mov_b32 v10, s21 :: v_dual_add_nc_u32 v19, 32, v18
	v_cmp_lt_u32_e64 s3, 1, v6
	v_cmp_lt_u32_e64 s4, 3, v6
	;; [unrolled: 1-line block ×3, first 2 shown]
	v_dual_mov_b32 v12, s31 :: v_dual_lshlrev_b32 v21, 2, v0
	v_cmp_eq_u32_e64 s7, v4, v8
	v_cmp_eq_u32_e64 s9, 0, v8
	v_mul_i32_i24_e32 v20, 0xffffffe4, v8
	v_cmp_eq_u32_e64 s10, 0, v24
	v_cmp_lt_u32_e64 s11, 1, v24
	v_cmp_lt_u32_e64 s12, 3, v24
	v_add_nc_u32_e32 v24, -4, v23
	v_lshlrev_b32_e32 v25, 2, v17
	v_lshlrev_b32_e32 v26, 2, v14
	;; [unrolled: 1-line block ×4, first 2 shown]
	s_add_i32 s17, s15, s14
	s_branch .LBB16_19
.LBB16_18:                              ;   in Loop: Header=BB16_19 Depth=1
	s_barrier
	buffer_gl0_inv
	ds_store_b32 v42, v29
	ds_store_b32 v43, v36
	;; [unrolled: 1-line block ×4, first 2 shown]
	s_waitcnt lgkmcnt(0)
	s_barrier
	buffer_gl0_inv
	ds_load_b32 v5, v25
	ds_load_b32 v1, v26
	;; [unrolled: 1-line block ×4, first 2 shown]
	s_waitcnt lgkmcnt(0)
	s_barrier
	buffer_gl0_inv
	ds_store_b8 v0, v33
	ds_store_b8 v4, v32
	;; [unrolled: 1-line block ×4, first 2 shown]
	s_waitcnt lgkmcnt(0)
	s_barrier
	buffer_gl0_inv
	ds_load_u8 v7, v17
	ds_load_u8 v37, v14
	;; [unrolled: 1-line block ×4, first 2 shown]
	s_add_i32 s15, s15, -8
	s_waitcnt lgkmcnt(0)
	s_barrier
	buffer_gl0_inv
	s_cbranch_execz .LBB16_35
.LBB16_19:                              ; =>This Inner Loop Header: Depth=1
	s_min_u32 s13, s15, 8
	ds_store_2addr_b64 v18, v[9:10], v[11:12] offset0:4 offset1:5
	ds_store_2addr_b64 v19, v[9:10], v[11:12] offset0:2 offset1:3
	s_lshl_b32 s13, -1, s13
	s_waitcnt lgkmcnt(0)
	s_not_b32 s20, s13
	v_mov_b32_e32 v29, v5
	s_barrier
	buffer_gl0_inv
	; wave barrier
	v_lshrrev_b32_e32 v0, s14, v29
	v_mov_b32_e32 v36, v1
	s_delay_alu instid0(VALU_DEP_2) | instskip(NEXT) | instid1(VALU_DEP_1)
	v_and_b32_e32 v4, s20, v0
	v_and_b32_e32 v0, 1, v4
	v_lshlrev_b32_e32 v5, 30, v4
	v_lshlrev_b32_e32 v6, 29, v4
	;; [unrolled: 1-line block ×4, first 2 shown]
	v_add_co_u32 v0, s13, v0, -1
	s_delay_alu instid0(VALU_DEP_1)
	v_cndmask_b32_e64 v31, 0, 1, s13
	v_not_b32_e32 v35, v5
	v_cmp_gt_i32_e64 s13, 0, v5
	v_not_b32_e32 v5, v6
	v_lshlrev_b32_e32 v33, 26, v4
	v_cmp_ne_u32_e32 vcc_lo, 0, v31
	v_ashrrev_i32_e32 v35, 31, v35
	v_lshlrev_b32_e32 v34, 25, v4
	v_ashrrev_i32_e32 v5, 31, v5
	v_lshlrev_b32_e32 v31, 24, v4
	v_xor_b32_e32 v0, vcc_lo, v0
	v_cmp_gt_i32_e32 vcc_lo, 0, v6
	v_not_b32_e32 v6, v30
	v_xor_b32_e32 v35, s13, v35
	v_cmp_gt_i32_e64 s13, 0, v30
	v_and_b32_e32 v0, exec_lo, v0
	v_not_b32_e32 v30, v32
	v_ashrrev_i32_e32 v6, 31, v6
	v_xor_b32_e32 v5, vcc_lo, v5
	v_cmp_gt_i32_e32 vcc_lo, 0, v32
	v_and_b32_e32 v0, v0, v35
	v_not_b32_e32 v32, v33
	v_ashrrev_i32_e32 v30, 31, v30
	v_xor_b32_e32 v6, s13, v6
	v_cmp_gt_i32_e64 s13, 0, v33
	v_and_b32_e32 v0, v0, v5
	v_ashrrev_i32_e32 v32, 31, v32
	v_xor_b32_e32 v30, vcc_lo, v30
	v_not_b32_e32 v5, v34
	v_cmp_gt_i32_e32 vcc_lo, 0, v34
	v_and_b32_e32 v0, v0, v6
	v_xor_b32_e32 v32, s13, v32
	v_lshl_add_u32 v1, v4, 3, v22
	v_ashrrev_i32_e32 v5, 31, v5
	v_mov_b32_e32 v34, v3
	v_dual_mov_b32 v35, v2 :: v_dual_and_b32 v0, v0, v30
	v_mov_b32_e32 v33, v7
	s_delay_alu instid0(VALU_DEP_4) | instskip(SKIP_1) | instid1(VALU_DEP_4)
	v_xor_b32_e32 v5, vcc_lo, v5
	v_mov_b32_e32 v30, v39
	v_and_b32_e32 v0, v0, v32
	v_mov_b32_e32 v32, v37
	v_not_b32_e32 v6, v31
	v_cmp_gt_i32_e64 s13, 0, v31
	s_delay_alu instid0(VALU_DEP_4) | instskip(SKIP_1) | instid1(VALU_DEP_4)
	v_dual_mov_b32 v31, v38 :: v_dual_and_b32 v0, v0, v5
	v_lshl_add_u32 v38, v1, 2, 32
	v_ashrrev_i32_e32 v6, 31, v6
	s_delay_alu instid0(VALU_DEP_1) | instskip(NEXT) | instid1(VALU_DEP_1)
	v_xor_b32_e32 v6, s13, v6
	v_and_b32_e32 v0, v0, v6
	s_delay_alu instid0(VALU_DEP_1) | instskip(SKIP_1) | instid1(VALU_DEP_2)
	v_mbcnt_lo_u32_b32 v37, v0, 0
	v_cmp_ne_u32_e64 s13, 0, v0
	v_cmp_eq_u32_e32 vcc_lo, 0, v37
	s_delay_alu instid0(VALU_DEP_2) | instskip(NEXT) | instid1(SALU_CYCLE_1)
	s_and_b32 s21, s13, vcc_lo
	s_and_saveexec_b32 s13, s21
	s_cbranch_execz .LBB16_21
; %bb.20:                               ;   in Loop: Header=BB16_19 Depth=1
	v_bcnt_u32_b32 v0, v0, 0
	ds_store_b32 v38, v0
.LBB16_21:                              ;   in Loop: Header=BB16_19 Depth=1
	s_or_b32 exec_lo, exec_lo, s13
	v_lshrrev_b32_e32 v0, s14, v36
	; wave barrier
	s_delay_alu instid0(VALU_DEP_1) | instskip(NEXT) | instid1(VALU_DEP_1)
	v_and_b32_e32 v0, s20, v0
	v_and_b32_e32 v1, 1, v0
	v_lshlrev_b32_e32 v2, 30, v0
	v_lshlrev_b32_e32 v3, 29, v0
	;; [unrolled: 1-line block ×4, first 2 shown]
	v_add_co_u32 v1, s13, v1, -1
	s_delay_alu instid0(VALU_DEP_1)
	v_cndmask_b32_e64 v5, 0, 1, s13
	v_not_b32_e32 v40, v2
	v_cmp_gt_i32_e64 s13, 0, v2
	v_not_b32_e32 v2, v3
	v_lshlrev_b32_e32 v7, 26, v0
	v_cmp_ne_u32_e32 vcc_lo, 0, v5
	v_ashrrev_i32_e32 v40, 31, v40
	v_lshlrev_b32_e32 v39, 25, v0
	v_ashrrev_i32_e32 v2, 31, v2
	v_lshlrev_b32_e32 v5, 24, v0
	v_xor_b32_e32 v1, vcc_lo, v1
	v_cmp_gt_i32_e32 vcc_lo, 0, v3
	v_not_b32_e32 v3, v4
	v_xor_b32_e32 v40, s13, v40
	v_cmp_gt_i32_e64 s13, 0, v4
	v_and_b32_e32 v1, exec_lo, v1
	v_not_b32_e32 v4, v6
	v_ashrrev_i32_e32 v3, 31, v3
	v_xor_b32_e32 v2, vcc_lo, v2
	v_cmp_gt_i32_e32 vcc_lo, 0, v6
	v_and_b32_e32 v1, v1, v40
	v_not_b32_e32 v6, v7
	v_ashrrev_i32_e32 v4, 31, v4
	v_xor_b32_e32 v3, s13, v3
	v_cmp_gt_i32_e64 s13, 0, v7
	v_and_b32_e32 v1, v1, v2
	v_not_b32_e32 v2, v39
	v_ashrrev_i32_e32 v6, 31, v6
	v_xor_b32_e32 v4, vcc_lo, v4
	v_cmp_gt_i32_e32 vcc_lo, 0, v39
	v_and_b32_e32 v1, v1, v3
	v_not_b32_e32 v3, v5
	v_ashrrev_i32_e32 v2, 31, v2
	v_xor_b32_e32 v6, s13, v6
	v_lshlrev_b32_e32 v0, 3, v0
	v_and_b32_e32 v1, v1, v4
	v_cmp_gt_i32_e64 s13, 0, v5
	v_ashrrev_i32_e32 v3, 31, v3
	v_xor_b32_e32 v2, vcc_lo, v2
	v_add_lshl_u32 v4, v0, v22, 2
	v_and_b32_e32 v1, v1, v6
	s_delay_alu instid0(VALU_DEP_4) | instskip(SKIP_3) | instid1(VALU_DEP_2)
	v_xor_b32_e32 v0, s13, v3
	ds_load_b32 v39, v4 offset:32
	v_and_b32_e32 v1, v1, v2
	v_add_nc_u32_e32 v41, 32, v4
	; wave barrier
	v_and_b32_e32 v0, v1, v0
	s_delay_alu instid0(VALU_DEP_1) | instskip(SKIP_1) | instid1(VALU_DEP_2)
	v_mbcnt_lo_u32_b32 v40, v0, 0
	v_cmp_ne_u32_e64 s13, 0, v0
	v_cmp_eq_u32_e32 vcc_lo, 0, v40
	s_delay_alu instid0(VALU_DEP_2) | instskip(NEXT) | instid1(SALU_CYCLE_1)
	s_and_b32 s21, s13, vcc_lo
	s_and_saveexec_b32 s13, s21
	s_cbranch_execz .LBB16_23
; %bb.22:                               ;   in Loop: Header=BB16_19 Depth=1
	s_waitcnt lgkmcnt(0)
	v_bcnt_u32_b32 v0, v0, v39
	ds_store_b32 v41, v0
.LBB16_23:                              ;   in Loop: Header=BB16_19 Depth=1
	s_or_b32 exec_lo, exec_lo, s13
	v_lshrrev_b32_e32 v0, s14, v35
	; wave barrier
	s_delay_alu instid0(VALU_DEP_1) | instskip(NEXT) | instid1(VALU_DEP_1)
	v_and_b32_e32 v0, s20, v0
	v_and_b32_e32 v1, 1, v0
	v_lshlrev_b32_e32 v2, 30, v0
	v_lshlrev_b32_e32 v3, 29, v0
	;; [unrolled: 1-line block ×4, first 2 shown]
	v_add_co_u32 v1, s13, v1, -1
	s_delay_alu instid0(VALU_DEP_1)
	v_cndmask_b32_e64 v5, 0, 1, s13
	v_not_b32_e32 v43, v2
	v_cmp_gt_i32_e64 s13, 0, v2
	v_not_b32_e32 v2, v3
	v_lshlrev_b32_e32 v7, 26, v0
	v_cmp_ne_u32_e32 vcc_lo, 0, v5
	v_ashrrev_i32_e32 v43, 31, v43
	v_lshlrev_b32_e32 v42, 25, v0
	v_ashrrev_i32_e32 v2, 31, v2
	v_lshlrev_b32_e32 v5, 24, v0
	v_xor_b32_e32 v1, vcc_lo, v1
	v_cmp_gt_i32_e32 vcc_lo, 0, v3
	v_not_b32_e32 v3, v4
	v_xor_b32_e32 v43, s13, v43
	v_cmp_gt_i32_e64 s13, 0, v4
	v_and_b32_e32 v1, exec_lo, v1
	v_not_b32_e32 v4, v6
	v_ashrrev_i32_e32 v3, 31, v3
	v_xor_b32_e32 v2, vcc_lo, v2
	v_cmp_gt_i32_e32 vcc_lo, 0, v6
	v_and_b32_e32 v1, v1, v43
	v_not_b32_e32 v6, v7
	v_ashrrev_i32_e32 v4, 31, v4
	v_xor_b32_e32 v3, s13, v3
	v_cmp_gt_i32_e64 s13, 0, v7
	v_and_b32_e32 v1, v1, v2
	v_not_b32_e32 v2, v42
	v_ashrrev_i32_e32 v6, 31, v6
	v_xor_b32_e32 v4, vcc_lo, v4
	v_cmp_gt_i32_e32 vcc_lo, 0, v42
	v_and_b32_e32 v1, v1, v3
	v_not_b32_e32 v3, v5
	v_ashrrev_i32_e32 v2, 31, v2
	v_xor_b32_e32 v6, s13, v6
	v_lshlrev_b32_e32 v0, 3, v0
	v_and_b32_e32 v1, v1, v4
	v_cmp_gt_i32_e64 s13, 0, v5
	v_ashrrev_i32_e32 v3, 31, v3
	v_xor_b32_e32 v2, vcc_lo, v2
	v_add_lshl_u32 v4, v0, v22, 2
	v_and_b32_e32 v1, v1, v6
	s_delay_alu instid0(VALU_DEP_4) | instskip(SKIP_3) | instid1(VALU_DEP_2)
	v_xor_b32_e32 v0, s13, v3
	ds_load_b32 v42, v4 offset:32
	v_and_b32_e32 v1, v1, v2
	v_add_nc_u32_e32 v44, 32, v4
	; wave barrier
	v_and_b32_e32 v0, v1, v0
	s_delay_alu instid0(VALU_DEP_1) | instskip(SKIP_1) | instid1(VALU_DEP_2)
	v_mbcnt_lo_u32_b32 v43, v0, 0
	v_cmp_ne_u32_e64 s13, 0, v0
	v_cmp_eq_u32_e32 vcc_lo, 0, v43
	s_delay_alu instid0(VALU_DEP_2) | instskip(NEXT) | instid1(SALU_CYCLE_1)
	s_and_b32 s21, s13, vcc_lo
	s_and_saveexec_b32 s13, s21
	s_cbranch_execz .LBB16_25
; %bb.24:                               ;   in Loop: Header=BB16_19 Depth=1
	s_waitcnt lgkmcnt(0)
	v_bcnt_u32_b32 v0, v0, v42
	ds_store_b32 v44, v0
.LBB16_25:                              ;   in Loop: Header=BB16_19 Depth=1
	s_or_b32 exec_lo, exec_lo, s13
	v_lshrrev_b32_e32 v0, s14, v34
	; wave barrier
	s_delay_alu instid0(VALU_DEP_1) | instskip(NEXT) | instid1(VALU_DEP_1)
	v_and_b32_e32 v0, s20, v0
	v_and_b32_e32 v1, 1, v0
	v_lshlrev_b32_e32 v2, 30, v0
	v_lshlrev_b32_e32 v3, 29, v0
	;; [unrolled: 1-line block ×4, first 2 shown]
	v_add_co_u32 v1, s13, v1, -1
	s_delay_alu instid0(VALU_DEP_1)
	v_cndmask_b32_e64 v5, 0, 1, s13
	v_not_b32_e32 v46, v2
	v_cmp_gt_i32_e64 s13, 0, v2
	v_not_b32_e32 v2, v3
	v_lshlrev_b32_e32 v7, 26, v0
	v_cmp_ne_u32_e32 vcc_lo, 0, v5
	v_ashrrev_i32_e32 v46, 31, v46
	v_lshlrev_b32_e32 v45, 25, v0
	v_ashrrev_i32_e32 v2, 31, v2
	v_lshlrev_b32_e32 v5, 24, v0
	v_xor_b32_e32 v1, vcc_lo, v1
	v_cmp_gt_i32_e32 vcc_lo, 0, v3
	v_not_b32_e32 v3, v4
	v_xor_b32_e32 v46, s13, v46
	v_cmp_gt_i32_e64 s13, 0, v4
	v_and_b32_e32 v1, exec_lo, v1
	v_not_b32_e32 v4, v6
	v_ashrrev_i32_e32 v3, 31, v3
	v_xor_b32_e32 v2, vcc_lo, v2
	v_cmp_gt_i32_e32 vcc_lo, 0, v6
	v_and_b32_e32 v1, v1, v46
	v_not_b32_e32 v6, v7
	v_ashrrev_i32_e32 v4, 31, v4
	v_xor_b32_e32 v3, s13, v3
	v_cmp_gt_i32_e64 s13, 0, v7
	v_and_b32_e32 v1, v1, v2
	v_not_b32_e32 v2, v45
	v_ashrrev_i32_e32 v6, 31, v6
	v_xor_b32_e32 v4, vcc_lo, v4
	v_cmp_gt_i32_e32 vcc_lo, 0, v45
	v_and_b32_e32 v1, v1, v3
	v_not_b32_e32 v3, v5
	v_ashrrev_i32_e32 v2, 31, v2
	v_xor_b32_e32 v6, s13, v6
	v_lshlrev_b32_e32 v0, 3, v0
	v_and_b32_e32 v1, v1, v4
	v_cmp_gt_i32_e64 s13, 0, v5
	v_ashrrev_i32_e32 v3, 31, v3
	v_xor_b32_e32 v2, vcc_lo, v2
	v_add_lshl_u32 v4, v0, v22, 2
	v_and_b32_e32 v1, v1, v6
	s_delay_alu instid0(VALU_DEP_4) | instskip(SKIP_3) | instid1(VALU_DEP_2)
	v_xor_b32_e32 v0, s13, v3
	ds_load_b32 v45, v4 offset:32
	v_and_b32_e32 v1, v1, v2
	v_add_nc_u32_e32 v47, 32, v4
	; wave barrier
	v_and_b32_e32 v0, v1, v0
	s_delay_alu instid0(VALU_DEP_1) | instskip(SKIP_1) | instid1(VALU_DEP_2)
	v_mbcnt_lo_u32_b32 v46, v0, 0
	v_cmp_ne_u32_e64 s13, 0, v0
	v_cmp_eq_u32_e32 vcc_lo, 0, v46
	s_delay_alu instid0(VALU_DEP_2) | instskip(NEXT) | instid1(SALU_CYCLE_1)
	s_and_b32 s20, s13, vcc_lo
	s_and_saveexec_b32 s13, s20
	s_cbranch_execz .LBB16_27
; %bb.26:                               ;   in Loop: Header=BB16_19 Depth=1
	s_waitcnt lgkmcnt(0)
	v_bcnt_u32_b32 v0, v0, v45
	ds_store_b32 v47, v0
.LBB16_27:                              ;   in Loop: Header=BB16_19 Depth=1
	s_or_b32 exec_lo, exec_lo, s13
	; wave barrier
	s_waitcnt lgkmcnt(0)
	s_barrier
	buffer_gl0_inv
	ds_load_2addr_b64 v[4:7], v18 offset0:4 offset1:5
	ds_load_2addr_b64 v[0:3], v19 offset0:2 offset1:3
	s_waitcnt lgkmcnt(1)
	v_add_nc_u32_e32 v48, v5, v4
	s_delay_alu instid0(VALU_DEP_1) | instskip(SKIP_1) | instid1(VALU_DEP_1)
	v_add3_u32 v48, v48, v6, v7
	s_waitcnt lgkmcnt(0)
	v_add3_u32 v48, v48, v0, v1
	s_delay_alu instid0(VALU_DEP_1) | instskip(NEXT) | instid1(VALU_DEP_1)
	v_add3_u32 v3, v48, v2, v3
	v_mov_b32_dpp v48, v3 row_shr:1 row_mask:0xf bank_mask:0xf
	s_delay_alu instid0(VALU_DEP_1) | instskip(NEXT) | instid1(VALU_DEP_1)
	v_cndmask_b32_e64 v48, v48, 0, s2
	v_add_nc_u32_e32 v3, v48, v3
	s_delay_alu instid0(VALU_DEP_1) | instskip(NEXT) | instid1(VALU_DEP_1)
	v_mov_b32_dpp v48, v3 row_shr:2 row_mask:0xf bank_mask:0xf
	v_cndmask_b32_e64 v48, 0, v48, s3
	s_delay_alu instid0(VALU_DEP_1) | instskip(NEXT) | instid1(VALU_DEP_1)
	v_add_nc_u32_e32 v3, v3, v48
	v_mov_b32_dpp v48, v3 row_shr:4 row_mask:0xf bank_mask:0xf
	s_delay_alu instid0(VALU_DEP_1) | instskip(NEXT) | instid1(VALU_DEP_1)
	v_cndmask_b32_e64 v48, 0, v48, s4
	v_add_nc_u32_e32 v3, v3, v48
	s_delay_alu instid0(VALU_DEP_1) | instskip(NEXT) | instid1(VALU_DEP_1)
	v_mov_b32_dpp v48, v3 row_shr:8 row_mask:0xf bank_mask:0xf
	v_cndmask_b32_e64 v48, 0, v48, s5
	s_delay_alu instid0(VALU_DEP_1) | instskip(SKIP_3) | instid1(VALU_DEP_1)
	v_add_nc_u32_e32 v3, v3, v48
	ds_swizzle_b32 v48, v3 offset:swizzle(BROADCAST,32,15)
	s_waitcnt lgkmcnt(0)
	v_cndmask_b32_e64 v48, v48, 0, s6
	v_add_nc_u32_e32 v3, v3, v48
	s_and_saveexec_b32 s13, s7
	s_cbranch_execz .LBB16_29
; %bb.28:                               ;   in Loop: Header=BB16_19 Depth=1
	ds_store_b32 v23, v3
.LBB16_29:                              ;   in Loop: Header=BB16_19 Depth=1
	s_or_b32 exec_lo, exec_lo, s13
	s_waitcnt lgkmcnt(0)
	s_barrier
	buffer_gl0_inv
	s_and_saveexec_b32 s13, s0
	s_cbranch_execz .LBB16_31
; %bb.30:                               ;   in Loop: Header=BB16_19 Depth=1
	v_add_nc_u32_e32 v48, v18, v20
	ds_load_b32 v49, v48
	s_waitcnt lgkmcnt(0)
	v_mov_b32_dpp v50, v49 row_shr:1 row_mask:0xf bank_mask:0xf
	s_delay_alu instid0(VALU_DEP_1) | instskip(NEXT) | instid1(VALU_DEP_1)
	v_cndmask_b32_e64 v50, v50, 0, s10
	v_add_nc_u32_e32 v49, v50, v49
	s_delay_alu instid0(VALU_DEP_1) | instskip(NEXT) | instid1(VALU_DEP_1)
	v_mov_b32_dpp v50, v49 row_shr:2 row_mask:0xf bank_mask:0xf
	v_cndmask_b32_e64 v50, 0, v50, s11
	s_delay_alu instid0(VALU_DEP_1) | instskip(NEXT) | instid1(VALU_DEP_1)
	v_add_nc_u32_e32 v49, v49, v50
	v_mov_b32_dpp v50, v49 row_shr:4 row_mask:0xf bank_mask:0xf
	s_delay_alu instid0(VALU_DEP_1) | instskip(NEXT) | instid1(VALU_DEP_1)
	v_cndmask_b32_e64 v50, 0, v50, s12
	v_add_nc_u32_e32 v49, v49, v50
	ds_store_b32 v48, v49
.LBB16_31:                              ;   in Loop: Header=BB16_19 Depth=1
	s_or_b32 exec_lo, exec_lo, s13
	v_mov_b32_e32 v48, 0
	s_waitcnt lgkmcnt(0)
	s_barrier
	buffer_gl0_inv
	s_and_saveexec_b32 s13, s1
	s_cbranch_execz .LBB16_33
; %bb.32:                               ;   in Loop: Header=BB16_19 Depth=1
	ds_load_b32 v48, v24
.LBB16_33:                              ;   in Loop: Header=BB16_19 Depth=1
	s_or_b32 exec_lo, exec_lo, s13
	s_waitcnt lgkmcnt(0)
	v_add_nc_u32_e32 v3, v48, v3
	s_add_i32 s14, s14, 8
	s_delay_alu instid0(SALU_CYCLE_1) | instskip(SKIP_3) | instid1(VALU_DEP_1)
	s_cmp_ge_u32 s14, s17
	ds_bpermute_b32 v3, v21, v3
	s_waitcnt lgkmcnt(0)
	v_cndmask_b32_e64 v3, v3, v48, s8
	v_cndmask_b32_e64 v3, v3, 0, s9
	s_delay_alu instid0(VALU_DEP_1) | instskip(NEXT) | instid1(VALU_DEP_1)
	v_add_nc_u32_e32 v4, v3, v4
	v_add_nc_u32_e32 v5, v4, v5
	s_delay_alu instid0(VALU_DEP_1) | instskip(NEXT) | instid1(VALU_DEP_1)
	v_add_nc_u32_e32 v6, v5, v6
	v_add_nc_u32_e32 v48, v6, v7
	;; [unrolled: 3-line block ×3, first 2 shown]
	s_delay_alu instid0(VALU_DEP_1)
	v_add_nc_u32_e32 v1, v0, v2
	ds_store_2addr_b64 v18, v[3:4], v[5:6] offset0:4 offset1:5
	ds_store_2addr_b64 v19, v[48:49], v[0:1] offset0:2 offset1:3
	s_waitcnt lgkmcnt(0)
	s_barrier
	buffer_gl0_inv
	ds_load_b32 v0, v38
	ds_load_b32 v1, v41
	;; [unrolled: 1-line block ×4, first 2 shown]
	s_waitcnt lgkmcnt(0)
	v_add_nc_u32_e32 v0, v0, v37
	v_add3_u32 v4, v40, v39, v1
	v_add3_u32 v6, v43, v42, v2
	;; [unrolled: 1-line block ×3, first 2 shown]
	s_delay_alu instid0(VALU_DEP_4) | instskip(NEXT) | instid1(VALU_DEP_4)
	v_lshlrev_b32_e32 v42, 2, v0
	v_lshlrev_b32_e32 v43, 2, v4
	s_delay_alu instid0(VALU_DEP_4) | instskip(NEXT) | instid1(VALU_DEP_4)
	v_lshlrev_b32_e32 v44, 2, v6
	v_lshlrev_b32_e32 v41, 2, v40
	s_cbranch_scc0 .LBB16_18
; %bb.34:
                                        ; implicit-def: $vgpr3
                                        ; implicit-def: $vgpr2
                                        ; implicit-def: $vgpr1
                                        ; implicit-def: $vgpr5
                                        ; implicit-def: $sgpr14
                                        ; implicit-def: $vgpr7
                                        ; implicit-def: $vgpr37
                                        ; implicit-def: $vgpr38
                                        ; implicit-def: $vgpr39
.LBB16_35:
	v_add_nc_u32_e32 v1, v18, v20
	s_barrier
	buffer_gl0_inv
	ds_store_b32 v42, v29
	ds_store_b32 v43, v36
	;; [unrolled: 1-line block ×4, first 2 shown]
	s_waitcnt lgkmcnt(0)
	s_barrier
	buffer_gl0_inv
	ds_load_b32 v1, v1
	ds_load_2addr_stride64_b32 v[11:12], v13 offset0:4 offset1:8
	ds_load_b32 v14, v13 offset:3072
	s_waitcnt lgkmcnt(0)
	s_barrier
	buffer_gl0_inv
	ds_store_b8 v0, v33
	ds_store_b8 v4, v32
	;; [unrolled: 1-line block ×4, first 2 shown]
	s_waitcnt lgkmcnt(0)
	s_barrier
	buffer_gl0_inv
	ds_load_u8 v5, v8
	ds_load_u8 v4, v8 offset:256
	ds_load_u8 v3, v8 offset:512
	;; [unrolled: 1-line block ×3, first 2 shown]
	s_add_u32 s0, s18, s26
	s_addc_u32 s1, s19, s27
	v_add_co_u32 v0, s0, s0, v13
	s_mov_b32 s2, 0
	s_and_not1_b32 vcc_lo, exec_lo, s28
	v_xor_b32_e32 v10, 0x80000000, v1
	v_xor_b32_e32 v7, 0x80000000, v11
	;; [unrolled: 1-line block ×4, first 2 shown]
	v_add_co_ci_u32_e64 v1, null, s1, 0, s0
	s_mov_b32 s0, -1
	s_cbranch_vccz .LBB16_39
; %bb.36:
	s_and_not1_b32 vcc_lo, exec_lo, s0
	s_cbranch_vccz .LBB16_40
.LBB16_37:
	s_and_saveexec_b32 s0, s2
	s_cbranch_execnz .LBB16_53
.LBB16_38:
	s_nop 0
	s_sendmsg sendmsg(MSG_DEALLOC_VGPRS)
	s_endpgm
.LBB16_39:
	s_add_u32 s0, s22, s24
	s_addc_u32 s1, s23, 0
	v_add_co_u32 v11, s0, s0, v8
	s_delay_alu instid0(VALU_DEP_1)
	v_add_co_ci_u32_e64 v12, null, s1, 0, s0
	s_mov_b32 s2, -1
	s_clause 0x3
	global_store_b32 v[0:1], v10, off
	global_store_b32 v[0:1], v7, off offset:1024
	global_store_b32 v[0:1], v9, off offset:2048
	;; [unrolled: 1-line block ×3, first 2 shown]
	s_waitcnt lgkmcnt(3)
	global_store_b8 v[11:12], v5, off
	s_waitcnt lgkmcnt(2)
	global_store_b8 v[11:12], v4, off offset:256
	s_waitcnt lgkmcnt(1)
	global_store_b8 v[11:12], v3, off offset:512
	s_cbranch_execnz .LBB16_37
.LBB16_40:
	v_cmp_gt_u32_e32 vcc_lo, s16, v8
	s_and_saveexec_b32 s0, vcc_lo
	s_cbranch_execz .LBB16_42
; %bb.41:
	global_store_b32 v[0:1], v10, off
.LBB16_42:
	s_or_b32 exec_lo, exec_lo, s0
	v_add_nc_u32_e32 v10, 0x100, v8
	s_delay_alu instid0(VALU_DEP_1) | instskip(NEXT) | instid1(VALU_DEP_1)
	v_cmp_gt_u32_e64 s0, s16, v10
	s_and_saveexec_b32 s1, s0
	s_cbranch_execz .LBB16_44
; %bb.43:
	global_store_b32 v[0:1], v7, off offset:1024
.LBB16_44:
	s_or_b32 exec_lo, exec_lo, s1
	v_add_nc_u32_e32 v7, 0x200, v8
	s_delay_alu instid0(VALU_DEP_1) | instskip(NEXT) | instid1(VALU_DEP_1)
	v_cmp_gt_u32_e64 s1, s16, v7
	s_and_saveexec_b32 s2, s1
	s_cbranch_execz .LBB16_46
; %bb.45:
	global_store_b32 v[0:1], v9, off offset:2048
.LBB16_46:
	;; [unrolled: 9-line block ×3, first 2 shown]
	s_or_b32 exec_lo, exec_lo, s3
	s_add_u32 s3, s22, s24
	s_addc_u32 s4, s23, 0
	v_add_co_u32 v0, s3, s3, v8
	s_delay_alu instid0(VALU_DEP_1)
	v_add_co_ci_u32_e64 v1, null, s4, 0, s3
	s_and_saveexec_b32 s3, vcc_lo
	s_cbranch_execnz .LBB16_57
; %bb.49:
	s_or_b32 exec_lo, exec_lo, s3
	s_and_saveexec_b32 s3, s0
	s_cbranch_execnz .LBB16_58
.LBB16_50:
	s_or_b32 exec_lo, exec_lo, s3
	s_and_saveexec_b32 s0, s1
	s_cbranch_execz .LBB16_52
.LBB16_51:
	s_waitcnt lgkmcnt(1)
	global_store_b8 v[0:1], v3, off offset:512
.LBB16_52:
	s_or_b32 exec_lo, exec_lo, s0
	s_and_saveexec_b32 s0, s2
	s_cbranch_execz .LBB16_38
.LBB16_53:
	s_add_u32 s0, s22, s24
	s_addc_u32 s1, s23, 0
	v_add_co_u32 v0, s0, s0, v8
	s_delay_alu instid0(VALU_DEP_1)
	v_add_co_ci_u32_e64 v1, null, s1, 0, s0
	s_waitcnt lgkmcnt(0)
	global_store_b8 v[0:1], v2, off offset:768
	s_nop 0
	s_sendmsg sendmsg(MSG_DEALLOC_VGPRS)
	s_endpgm
.LBB16_54:
	global_load_u8 v7, v[5:6], off
	s_or_b32 exec_lo, exec_lo, s5
                                        ; implicit-def: $vgpr37
	s_and_saveexec_b32 s5, s2
	s_cbranch_execz .LBB16_13
.LBB16_55:
	global_load_u8 v37, v[5:6], off offset:32
	s_or_b32 exec_lo, exec_lo, s5
                                        ; implicit-def: $vgpr38
	s_and_saveexec_b32 s2, s3
	s_cbranch_execz .LBB16_14
.LBB16_56:
	global_load_u8 v38, v[5:6], off offset:64
	s_or_b32 exec_lo, exec_lo, s2
                                        ; implicit-def: $vgpr39
	s_and_saveexec_b32 s2, s4
	s_cbranch_execnz .LBB16_15
	s_branch .LBB16_16
.LBB16_57:
	s_waitcnt lgkmcnt(3)
	global_store_b8 v[0:1], v5, off
	s_or_b32 exec_lo, exec_lo, s3
	s_and_saveexec_b32 s3, s0
	s_cbranch_execz .LBB16_50
.LBB16_58:
	s_waitcnt lgkmcnt(2)
	global_store_b8 v[0:1], v4, off offset:256
	s_or_b32 exec_lo, exec_lo, s3
	s_and_saveexec_b32 s0, s1
	s_cbranch_execnz .LBB16_51
	s_branch .LBB16_52
	.section	.rodata,"a",@progbits
	.p2align	6, 0x0
	.amdhsa_kernel _ZN7rocprim17ROCPRIM_304000_NS6detail28radix_sort_block_sort_kernelINS1_36wrapped_radix_sort_block_sort_configINS0_13kernel_configILj256ELj4ELj4294967295EEEiN2at4cuda3cub6detail10OpaqueTypeILi1EEEEELb0EPKiPiPKSB_PSB_NS0_19identity_decomposerEEEvT1_T2_T3_T4_jT5_jj
		.amdhsa_group_segment_fixed_size 8224
		.amdhsa_private_segment_fixed_size 0
		.amdhsa_kernarg_size 304
		.amdhsa_user_sgpr_count 15
		.amdhsa_user_sgpr_dispatch_ptr 0
		.amdhsa_user_sgpr_queue_ptr 0
		.amdhsa_user_sgpr_kernarg_segment_ptr 1
		.amdhsa_user_sgpr_dispatch_id 0
		.amdhsa_user_sgpr_private_segment_size 0
		.amdhsa_wavefront_size32 1
		.amdhsa_uses_dynamic_stack 0
		.amdhsa_enable_private_segment 0
		.amdhsa_system_sgpr_workgroup_id_x 1
		.amdhsa_system_sgpr_workgroup_id_y 0
		.amdhsa_system_sgpr_workgroup_id_z 0
		.amdhsa_system_sgpr_workgroup_info 0
		.amdhsa_system_vgpr_workitem_id 2
		.amdhsa_next_free_vgpr 51
		.amdhsa_next_free_sgpr 32
		.amdhsa_reserve_vcc 1
		.amdhsa_float_round_mode_32 0
		.amdhsa_float_round_mode_16_64 0
		.amdhsa_float_denorm_mode_32 3
		.amdhsa_float_denorm_mode_16_64 3
		.amdhsa_dx10_clamp 1
		.amdhsa_ieee_mode 1
		.amdhsa_fp16_overflow 0
		.amdhsa_workgroup_processor_mode 1
		.amdhsa_memory_ordered 1
		.amdhsa_forward_progress 0
		.amdhsa_shared_vgpr_count 0
		.amdhsa_exception_fp_ieee_invalid_op 0
		.amdhsa_exception_fp_denorm_src 0
		.amdhsa_exception_fp_ieee_div_zero 0
		.amdhsa_exception_fp_ieee_overflow 0
		.amdhsa_exception_fp_ieee_underflow 0
		.amdhsa_exception_fp_ieee_inexact 0
		.amdhsa_exception_int_div_zero 0
	.end_amdhsa_kernel
	.section	.text._ZN7rocprim17ROCPRIM_304000_NS6detail28radix_sort_block_sort_kernelINS1_36wrapped_radix_sort_block_sort_configINS0_13kernel_configILj256ELj4ELj4294967295EEEiN2at4cuda3cub6detail10OpaqueTypeILi1EEEEELb0EPKiPiPKSB_PSB_NS0_19identity_decomposerEEEvT1_T2_T3_T4_jT5_jj,"axG",@progbits,_ZN7rocprim17ROCPRIM_304000_NS6detail28radix_sort_block_sort_kernelINS1_36wrapped_radix_sort_block_sort_configINS0_13kernel_configILj256ELj4ELj4294967295EEEiN2at4cuda3cub6detail10OpaqueTypeILi1EEEEELb0EPKiPiPKSB_PSB_NS0_19identity_decomposerEEEvT1_T2_T3_T4_jT5_jj,comdat
.Lfunc_end16:
	.size	_ZN7rocprim17ROCPRIM_304000_NS6detail28radix_sort_block_sort_kernelINS1_36wrapped_radix_sort_block_sort_configINS0_13kernel_configILj256ELj4ELj4294967295EEEiN2at4cuda3cub6detail10OpaqueTypeILi1EEEEELb0EPKiPiPKSB_PSB_NS0_19identity_decomposerEEEvT1_T2_T3_T4_jT5_jj, .Lfunc_end16-_ZN7rocprim17ROCPRIM_304000_NS6detail28radix_sort_block_sort_kernelINS1_36wrapped_radix_sort_block_sort_configINS0_13kernel_configILj256ELj4ELj4294967295EEEiN2at4cuda3cub6detail10OpaqueTypeILi1EEEEELb0EPKiPiPKSB_PSB_NS0_19identity_decomposerEEEvT1_T2_T3_T4_jT5_jj
                                        ; -- End function
	.section	.AMDGPU.csdata,"",@progbits
; Kernel info:
; codeLenInByte = 3948
; NumSgprs: 34
; NumVgprs: 51
; ScratchSize: 0
; MemoryBound: 0
; FloatMode: 240
; IeeeMode: 1
; LDSByteSize: 8224 bytes/workgroup (compile time only)
; SGPRBlocks: 4
; VGPRBlocks: 6
; NumSGPRsForWavesPerEU: 34
; NumVGPRsForWavesPerEU: 51
; Occupancy: 16
; WaveLimiterHint : 1
; COMPUTE_PGM_RSRC2:SCRATCH_EN: 0
; COMPUTE_PGM_RSRC2:USER_SGPR: 15
; COMPUTE_PGM_RSRC2:TRAP_HANDLER: 0
; COMPUTE_PGM_RSRC2:TGID_X_EN: 1
; COMPUTE_PGM_RSRC2:TGID_Y_EN: 0
; COMPUTE_PGM_RSRC2:TGID_Z_EN: 0
; COMPUTE_PGM_RSRC2:TIDIG_COMP_CNT: 2
	.section	.text._ZN7rocprim17ROCPRIM_304000_NS6detail45device_block_merge_mergepath_partition_kernelINS1_37wrapped_merge_sort_block_merge_configINS0_14default_configEiN2at4cuda3cub6detail10OpaqueTypeILi1EEEEEPijNS1_19radix_merge_compareILb0ELb0EiNS0_19identity_decomposerEEEEEvT0_T1_jPSH_T2_SH_,"axG",@progbits,_ZN7rocprim17ROCPRIM_304000_NS6detail45device_block_merge_mergepath_partition_kernelINS1_37wrapped_merge_sort_block_merge_configINS0_14default_configEiN2at4cuda3cub6detail10OpaqueTypeILi1EEEEEPijNS1_19radix_merge_compareILb0ELb0EiNS0_19identity_decomposerEEEEEvT0_T1_jPSH_T2_SH_,comdat
	.protected	_ZN7rocprim17ROCPRIM_304000_NS6detail45device_block_merge_mergepath_partition_kernelINS1_37wrapped_merge_sort_block_merge_configINS0_14default_configEiN2at4cuda3cub6detail10OpaqueTypeILi1EEEEEPijNS1_19radix_merge_compareILb0ELb0EiNS0_19identity_decomposerEEEEEvT0_T1_jPSH_T2_SH_ ; -- Begin function _ZN7rocprim17ROCPRIM_304000_NS6detail45device_block_merge_mergepath_partition_kernelINS1_37wrapped_merge_sort_block_merge_configINS0_14default_configEiN2at4cuda3cub6detail10OpaqueTypeILi1EEEEEPijNS1_19radix_merge_compareILb0ELb0EiNS0_19identity_decomposerEEEEEvT0_T1_jPSH_T2_SH_
	.globl	_ZN7rocprim17ROCPRIM_304000_NS6detail45device_block_merge_mergepath_partition_kernelINS1_37wrapped_merge_sort_block_merge_configINS0_14default_configEiN2at4cuda3cub6detail10OpaqueTypeILi1EEEEEPijNS1_19radix_merge_compareILb0ELb0EiNS0_19identity_decomposerEEEEEvT0_T1_jPSH_T2_SH_
	.p2align	8
	.type	_ZN7rocprim17ROCPRIM_304000_NS6detail45device_block_merge_mergepath_partition_kernelINS1_37wrapped_merge_sort_block_merge_configINS0_14default_configEiN2at4cuda3cub6detail10OpaqueTypeILi1EEEEEPijNS1_19radix_merge_compareILb0ELb0EiNS0_19identity_decomposerEEEEEvT0_T1_jPSH_T2_SH_,@function
_ZN7rocprim17ROCPRIM_304000_NS6detail45device_block_merge_mergepath_partition_kernelINS1_37wrapped_merge_sort_block_merge_configINS0_14default_configEiN2at4cuda3cub6detail10OpaqueTypeILi1EEEEEPijNS1_19radix_merge_compareILb0ELb0EiNS0_19identity_decomposerEEEEEvT0_T1_jPSH_T2_SH_: ; @_ZN7rocprim17ROCPRIM_304000_NS6detail45device_block_merge_mergepath_partition_kernelINS1_37wrapped_merge_sort_block_merge_configINS0_14default_configEiN2at4cuda3cub6detail10OpaqueTypeILi1EEEEEPijNS1_19radix_merge_compareILb0ELb0EiNS0_19identity_decomposerEEEEEvT0_T1_jPSH_T2_SH_
; %bb.0:
	s_load_b64 s[2:3], s[0:1], 0x8
	v_lshl_or_b32 v0, s15, 7, v0
	s_waitcnt lgkmcnt(0)
	s_delay_alu instid0(VALU_DEP_1)
	v_cmp_gt_u32_e32 vcc_lo, s3, v0
	s_and_saveexec_b32 s3, vcc_lo
	s_cbranch_execz .LBB17_6
; %bb.1:
	s_load_b32 s3, s[0:1], 0x1c
	s_waitcnt lgkmcnt(0)
	s_lshr_b32 s4, s3, 9
	s_delay_alu instid0(SALU_CYCLE_1) | instskip(NEXT) | instid1(SALU_CYCLE_1)
	s_and_b32 s4, s4, 0x7ffffe
	s_sub_i32 s5, 0, s4
	s_add_i32 s4, s4, -1
	v_and_b32_e32 v1, s5, v0
	v_and_b32_e32 v5, s4, v0
	s_delay_alu instid0(VALU_DEP_2) | instskip(NEXT) | instid1(VALU_DEP_1)
	v_lshlrev_b32_e32 v1, 10, v1
	v_add_nc_u32_e32 v2, s3, v1
	s_delay_alu instid0(VALU_DEP_1) | instskip(SKIP_1) | instid1(VALU_DEP_2)
	v_min_u32_e32 v4, s2, v2
	v_min_u32_e32 v2, s2, v1
	v_add_nc_u32_e32 v3, s3, v4
	s_delay_alu instid0(VALU_DEP_1) | instskip(SKIP_2) | instid1(VALU_DEP_2)
	v_min_u32_e32 v1, s2, v3
	v_lshlrev_b32_e32 v3, 10, v5
	s_mov_b32 s2, exec_lo
	v_sub_nc_u32_e32 v5, v1, v2
	v_sub_nc_u32_e32 v6, v1, v4
	s_delay_alu instid0(VALU_DEP_2) | instskip(SKIP_1) | instid1(VALU_DEP_2)
	v_min_u32_e32 v1, v5, v3
	v_sub_nc_u32_e32 v3, v4, v2
	v_sub_nc_u32_e64 v6, v1, v6 clamp
	s_delay_alu instid0(VALU_DEP_2) | instskip(NEXT) | instid1(VALU_DEP_1)
	v_min_u32_e32 v7, v1, v3
	v_cmpx_lt_u32_e64 v6, v7
	s_cbranch_execz .LBB17_5
; %bb.2:
	s_load_b64 s[4:5], s[0:1], 0x0
	v_mov_b32_e32 v5, 0
	s_mov_b32 s3, 0
	s_delay_alu instid0(VALU_DEP_1) | instskip(SKIP_1) | instid1(VALU_DEP_2)
	v_mov_b32_e32 v3, v5
	v_lshlrev_b64 v[10:11], 2, v[4:5]
	v_lshlrev_b64 v[8:9], 2, v[2:3]
	s_waitcnt lgkmcnt(0)
	s_delay_alu instid0(VALU_DEP_1) | instskip(NEXT) | instid1(VALU_DEP_2)
	v_add_co_u32 v3, vcc_lo, s4, v8
	v_add_co_ci_u32_e32 v8, vcc_lo, s5, v9, vcc_lo
	s_delay_alu instid0(VALU_DEP_4)
	v_add_co_u32 v9, vcc_lo, s4, v10
	v_add_co_ci_u32_e32 v10, vcc_lo, s5, v11, vcc_lo
	.p2align	6
.LBB17_3:                               ; =>This Inner Loop Header: Depth=1
	v_add_nc_u32_e32 v4, v7, v6
	s_delay_alu instid0(VALU_DEP_1) | instskip(SKIP_1) | instid1(VALU_DEP_2)
	v_lshrrev_b32_e32 v4, 1, v4
	v_mov_b32_e32 v12, v5
	v_xad_u32 v11, v4, -1, v1
	v_lshlrev_b64 v[13:14], 2, v[4:5]
	s_delay_alu instid0(VALU_DEP_2) | instskip(NEXT) | instid1(VALU_DEP_2)
	v_lshlrev_b64 v[11:12], 2, v[11:12]
	v_add_co_u32 v13, vcc_lo, v3, v13
	s_delay_alu instid0(VALU_DEP_3) | instskip(NEXT) | instid1(VALU_DEP_3)
	v_add_co_ci_u32_e32 v14, vcc_lo, v8, v14, vcc_lo
	v_add_co_u32 v11, vcc_lo, v9, v11
	s_delay_alu instid0(VALU_DEP_4)
	v_add_co_ci_u32_e32 v12, vcc_lo, v10, v12, vcc_lo
	s_clause 0x1
	global_load_b32 v13, v[13:14], off
	global_load_b32 v11, v[11:12], off
	v_add_nc_u32_e32 v12, 1, v4
	s_waitcnt vmcnt(0)
	v_cmp_gt_i32_e32 vcc_lo, v13, v11
	s_delay_alu instid0(VALU_DEP_2) | instskip(NEXT) | instid1(VALU_DEP_1)
	v_dual_cndmask_b32 v7, v7, v4 :: v_dual_cndmask_b32 v6, v12, v6
	v_cmp_ge_u32_e32 vcc_lo, v6, v7
	s_or_b32 s3, vcc_lo, s3
	s_delay_alu instid0(SALU_CYCLE_1)
	s_and_not1_b32 exec_lo, exec_lo, s3
	s_cbranch_execnz .LBB17_3
; %bb.4:
	s_or_b32 exec_lo, exec_lo, s3
.LBB17_5:
	s_delay_alu instid0(SALU_CYCLE_1) | instskip(SKIP_2) | instid1(VALU_DEP_1)
	s_or_b32 exec_lo, exec_lo, s2
	s_load_b64 s[0:1], s[0:1], 0x10
	v_dual_mov_b32 v1, 0 :: v_dual_add_nc_u32 v2, v6, v2
	v_lshlrev_b64 v[0:1], 2, v[0:1]
	s_waitcnt lgkmcnt(0)
	s_delay_alu instid0(VALU_DEP_1) | instskip(NEXT) | instid1(VALU_DEP_2)
	v_add_co_u32 v0, vcc_lo, s0, v0
	v_add_co_ci_u32_e32 v1, vcc_lo, s1, v1, vcc_lo
	global_store_b32 v[0:1], v2, off
.LBB17_6:
	s_nop 0
	s_sendmsg sendmsg(MSG_DEALLOC_VGPRS)
	s_endpgm
	.section	.rodata,"a",@progbits
	.p2align	6, 0x0
	.amdhsa_kernel _ZN7rocprim17ROCPRIM_304000_NS6detail45device_block_merge_mergepath_partition_kernelINS1_37wrapped_merge_sort_block_merge_configINS0_14default_configEiN2at4cuda3cub6detail10OpaqueTypeILi1EEEEEPijNS1_19radix_merge_compareILb0ELb0EiNS0_19identity_decomposerEEEEEvT0_T1_jPSH_T2_SH_
		.amdhsa_group_segment_fixed_size 0
		.amdhsa_private_segment_fixed_size 0
		.amdhsa_kernarg_size 32
		.amdhsa_user_sgpr_count 15
		.amdhsa_user_sgpr_dispatch_ptr 0
		.amdhsa_user_sgpr_queue_ptr 0
		.amdhsa_user_sgpr_kernarg_segment_ptr 1
		.amdhsa_user_sgpr_dispatch_id 0
		.amdhsa_user_sgpr_private_segment_size 0
		.amdhsa_wavefront_size32 1
		.amdhsa_uses_dynamic_stack 0
		.amdhsa_enable_private_segment 0
		.amdhsa_system_sgpr_workgroup_id_x 1
		.amdhsa_system_sgpr_workgroup_id_y 0
		.amdhsa_system_sgpr_workgroup_id_z 0
		.amdhsa_system_sgpr_workgroup_info 0
		.amdhsa_system_vgpr_workitem_id 0
		.amdhsa_next_free_vgpr 15
		.amdhsa_next_free_sgpr 16
		.amdhsa_reserve_vcc 1
		.amdhsa_float_round_mode_32 0
		.amdhsa_float_round_mode_16_64 0
		.amdhsa_float_denorm_mode_32 3
		.amdhsa_float_denorm_mode_16_64 3
		.amdhsa_dx10_clamp 1
		.amdhsa_ieee_mode 1
		.amdhsa_fp16_overflow 0
		.amdhsa_workgroup_processor_mode 1
		.amdhsa_memory_ordered 1
		.amdhsa_forward_progress 0
		.amdhsa_shared_vgpr_count 0
		.amdhsa_exception_fp_ieee_invalid_op 0
		.amdhsa_exception_fp_denorm_src 0
		.amdhsa_exception_fp_ieee_div_zero 0
		.amdhsa_exception_fp_ieee_overflow 0
		.amdhsa_exception_fp_ieee_underflow 0
		.amdhsa_exception_fp_ieee_inexact 0
		.amdhsa_exception_int_div_zero 0
	.end_amdhsa_kernel
	.section	.text._ZN7rocprim17ROCPRIM_304000_NS6detail45device_block_merge_mergepath_partition_kernelINS1_37wrapped_merge_sort_block_merge_configINS0_14default_configEiN2at4cuda3cub6detail10OpaqueTypeILi1EEEEEPijNS1_19radix_merge_compareILb0ELb0EiNS0_19identity_decomposerEEEEEvT0_T1_jPSH_T2_SH_,"axG",@progbits,_ZN7rocprim17ROCPRIM_304000_NS6detail45device_block_merge_mergepath_partition_kernelINS1_37wrapped_merge_sort_block_merge_configINS0_14default_configEiN2at4cuda3cub6detail10OpaqueTypeILi1EEEEEPijNS1_19radix_merge_compareILb0ELb0EiNS0_19identity_decomposerEEEEEvT0_T1_jPSH_T2_SH_,comdat
.Lfunc_end17:
	.size	_ZN7rocprim17ROCPRIM_304000_NS6detail45device_block_merge_mergepath_partition_kernelINS1_37wrapped_merge_sort_block_merge_configINS0_14default_configEiN2at4cuda3cub6detail10OpaqueTypeILi1EEEEEPijNS1_19radix_merge_compareILb0ELb0EiNS0_19identity_decomposerEEEEEvT0_T1_jPSH_T2_SH_, .Lfunc_end17-_ZN7rocprim17ROCPRIM_304000_NS6detail45device_block_merge_mergepath_partition_kernelINS1_37wrapped_merge_sort_block_merge_configINS0_14default_configEiN2at4cuda3cub6detail10OpaqueTypeILi1EEEEEPijNS1_19radix_merge_compareILb0ELb0EiNS0_19identity_decomposerEEEEEvT0_T1_jPSH_T2_SH_
                                        ; -- End function
	.section	.AMDGPU.csdata,"",@progbits
; Kernel info:
; codeLenInByte = 464
; NumSgprs: 18
; NumVgprs: 15
; ScratchSize: 0
; MemoryBound: 0
; FloatMode: 240
; IeeeMode: 1
; LDSByteSize: 0 bytes/workgroup (compile time only)
; SGPRBlocks: 2
; VGPRBlocks: 1
; NumSGPRsForWavesPerEU: 18
; NumVGPRsForWavesPerEU: 15
; Occupancy: 16
; WaveLimiterHint : 0
; COMPUTE_PGM_RSRC2:SCRATCH_EN: 0
; COMPUTE_PGM_RSRC2:USER_SGPR: 15
; COMPUTE_PGM_RSRC2:TRAP_HANDLER: 0
; COMPUTE_PGM_RSRC2:TGID_X_EN: 1
; COMPUTE_PGM_RSRC2:TGID_Y_EN: 0
; COMPUTE_PGM_RSRC2:TGID_Z_EN: 0
; COMPUTE_PGM_RSRC2:TIDIG_COMP_CNT: 0
	.section	.text._ZN7rocprim17ROCPRIM_304000_NS6detail35device_block_merge_mergepath_kernelINS1_37wrapped_merge_sort_block_merge_configINS0_14default_configEiN2at4cuda3cub6detail10OpaqueTypeILi1EEEEEPiSC_PSA_SD_jNS1_19radix_merge_compareILb0ELb0EiNS0_19identity_decomposerEEEEEvT0_T1_T2_T3_T4_SL_jT5_PKSL_NS1_7vsmem_tE,"axG",@progbits,_ZN7rocprim17ROCPRIM_304000_NS6detail35device_block_merge_mergepath_kernelINS1_37wrapped_merge_sort_block_merge_configINS0_14default_configEiN2at4cuda3cub6detail10OpaqueTypeILi1EEEEEPiSC_PSA_SD_jNS1_19radix_merge_compareILb0ELb0EiNS0_19identity_decomposerEEEEEvT0_T1_T2_T3_T4_SL_jT5_PKSL_NS1_7vsmem_tE,comdat
	.protected	_ZN7rocprim17ROCPRIM_304000_NS6detail35device_block_merge_mergepath_kernelINS1_37wrapped_merge_sort_block_merge_configINS0_14default_configEiN2at4cuda3cub6detail10OpaqueTypeILi1EEEEEPiSC_PSA_SD_jNS1_19radix_merge_compareILb0ELb0EiNS0_19identity_decomposerEEEEEvT0_T1_T2_T3_T4_SL_jT5_PKSL_NS1_7vsmem_tE ; -- Begin function _ZN7rocprim17ROCPRIM_304000_NS6detail35device_block_merge_mergepath_kernelINS1_37wrapped_merge_sort_block_merge_configINS0_14default_configEiN2at4cuda3cub6detail10OpaqueTypeILi1EEEEEPiSC_PSA_SD_jNS1_19radix_merge_compareILb0ELb0EiNS0_19identity_decomposerEEEEEvT0_T1_T2_T3_T4_SL_jT5_PKSL_NS1_7vsmem_tE
	.globl	_ZN7rocprim17ROCPRIM_304000_NS6detail35device_block_merge_mergepath_kernelINS1_37wrapped_merge_sort_block_merge_configINS0_14default_configEiN2at4cuda3cub6detail10OpaqueTypeILi1EEEEEPiSC_PSA_SD_jNS1_19radix_merge_compareILb0ELb0EiNS0_19identity_decomposerEEEEEvT0_T1_T2_T3_T4_SL_jT5_PKSL_NS1_7vsmem_tE
	.p2align	8
	.type	_ZN7rocprim17ROCPRIM_304000_NS6detail35device_block_merge_mergepath_kernelINS1_37wrapped_merge_sort_block_merge_configINS0_14default_configEiN2at4cuda3cub6detail10OpaqueTypeILi1EEEEEPiSC_PSA_SD_jNS1_19radix_merge_compareILb0ELb0EiNS0_19identity_decomposerEEEEEvT0_T1_T2_T3_T4_SL_jT5_PKSL_NS1_7vsmem_tE,@function
_ZN7rocprim17ROCPRIM_304000_NS6detail35device_block_merge_mergepath_kernelINS1_37wrapped_merge_sort_block_merge_configINS0_14default_configEiN2at4cuda3cub6detail10OpaqueTypeILi1EEEEEPiSC_PSA_SD_jNS1_19radix_merge_compareILb0ELb0EiNS0_19identity_decomposerEEEEEvT0_T1_T2_T3_T4_SL_jT5_PKSL_NS1_7vsmem_tE: ; @_ZN7rocprim17ROCPRIM_304000_NS6detail35device_block_merge_mergepath_kernelINS1_37wrapped_merge_sort_block_merge_configINS0_14default_configEiN2at4cuda3cub6detail10OpaqueTypeILi1EEEEEPiSC_PSA_SD_jNS1_19radix_merge_compareILb0ELb0EiNS0_19identity_decomposerEEEEEvT0_T1_T2_T3_T4_SL_jT5_PKSL_NS1_7vsmem_tE
; %bb.0:
	s_clause 0x1
	s_load_b64 s[22:23], s[0:1], 0x40
	s_load_b128 s[16:19], s[0:1], 0x20
	s_add_u32 s20, s0, 64
	s_addc_u32 s21, s1, 0
	s_waitcnt lgkmcnt(0)
	s_mul_i32 s2, s23, s15
	s_delay_alu instid0(SALU_CYCLE_1) | instskip(NEXT) | instid1(SALU_CYCLE_1)
	s_add_i32 s2, s2, s14
	s_mul_i32 s2, s2, s22
	s_delay_alu instid0(SALU_CYCLE_1) | instskip(NEXT) | instid1(SALU_CYCLE_1)
	s_add_i32 s2, s2, s13
	s_cmp_ge_u32 s2, s18
	s_cbranch_scc1 .LBB18_69
; %bb.1:
	s_load_b64 s[4:5], s[0:1], 0x30
	s_lshr_b32 s27, s16, 10
	s_mov_b32 s15, 0
	s_cmp_lg_u32 s2, s27
	s_mov_b32 s3, s15
	s_cselect_b32 s23, -1, 0
	s_lshl_b64 s[6:7], s[2:3], 2
	v_mov_b32_e32 v2, 0
	s_mov_b32 s19, s15
	v_lshlrev_b32_e32 v9, 2, v0
	s_waitcnt lgkmcnt(0)
	s_add_u32 s4, s4, s6
	s_addc_u32 s5, s5, s7
	s_lshl_b32 s12, s2, 10
	s_load_b64 s[24:25], s[4:5], 0x0
	s_load_b256 s[4:11], s[0:1], 0x0
	s_lshr_b32 s0, s17, 9
	global_load_b32 v1, v2, s[20:21] offset:14
	s_and_b32 s0, s0, 0x7ffffe
	s_delay_alu instid0(SALU_CYCLE_1) | instskip(NEXT) | instid1(SALU_CYCLE_1)
	s_sub_i32 s0, 0, s0
	s_and_b32 s1, s2, s0
	s_or_b32 s0, s2, s0
	s_lshl_b32 s3, s1, 11
	s_lshl_b32 s1, s1, 10
	s_add_i32 s3, s3, s17
	s_sub_i32 s14, s12, s1
	s_sub_i32 s1, s3, s1
	s_add_i32 s3, s3, s14
	s_min_u32 s26, s16, s1
	s_add_i32 s1, s1, s17
	s_waitcnt lgkmcnt(0)
	s_sub_i32 s14, s3, s24
	s_sub_i32 s3, s3, s25
	s_min_u32 s18, s16, s14
	s_addk_i32 s3, 0x400
	s_cmp_eq_u32 s0, -1
	s_mov_b32 s14, s24
	s_cselect_b32 s3, s1, s3
	s_cselect_b32 s17, s26, s25
	s_min_u32 s3, s3, s16
	s_lshl_b64 s[0:1], s[14:15], 2
	s_sub_i32 s17, s17, s24
	s_sub_i32 s24, s3, s18
	s_add_u32 s25, s4, s0
	s_addc_u32 s26, s5, s1
	s_lshl_b64 s[0:1], s[18:19], 2
	v_cmp_gt_u32_e32 vcc_lo, s17, v0
	s_add_u32 s3, s4, s0
	s_addc_u32 s4, s5, s1
	s_cmp_lt_u32 s13, s22
	s_cselect_b32 s0, 12, 18
	s_delay_alu instid0(SALU_CYCLE_1)
	s_add_u32 s0, s20, s0
	s_addc_u32 s1, s21, 0
	s_cmp_eq_u32 s2, s27
	global_load_u16 v3, v2, s[0:1]
	s_mov_b32 s0, -1
	s_waitcnt vmcnt(1)
	v_lshrrev_b32_e32 v4, 16, v1
	v_and_b32_e32 v1, 0xffff, v1
	s_delay_alu instid0(VALU_DEP_1) | instskip(SKIP_1) | instid1(VALU_DEP_1)
	v_mul_lo_u32 v1, v1, v4
	s_waitcnt vmcnt(0)
	v_mul_lo_u32 v10, v1, v3
	s_delay_alu instid0(VALU_DEP_1) | instskip(NEXT) | instid1(VALU_DEP_1)
	v_add_nc_u32_e32 v7, v10, v0
	v_add_nc_u32_e32 v5, v7, v10
	s_cbranch_scc1 .LBB18_3
; %bb.2:
	v_subrev_nc_u32_e32 v1, s17, v0
	v_add_co_u32 v6, s0, s25, v9
	s_delay_alu instid0(VALU_DEP_1) | instskip(NEXT) | instid1(VALU_DEP_3)
	v_add_co_ci_u32_e64 v13, null, s26, 0, s0
	v_lshlrev_b64 v[3:4], 2, v[1:2]
	v_subrev_nc_u32_e32 v1, s17, v7
	s_add_i32 s5, s24, s17
	s_delay_alu instid0(VALU_DEP_2) | instskip(SKIP_1) | instid1(VALU_DEP_4)
	v_add_co_u32 v15, s0, s3, v3
	v_mov_b32_e32 v8, v2
	v_add_co_ci_u32_e64 v14, s0, s4, v4, s0
	v_lshlrev_b64 v[3:4], 2, v[1:2]
	v_subrev_nc_u32_e32 v1, s17, v5
	s_delay_alu instid0(VALU_DEP_3) | instskip(SKIP_1) | instid1(VALU_DEP_3)
	v_dual_cndmask_b32 v14, v14, v13 :: v_dual_cndmask_b32 v13, v15, v6
	v_lshlrev_b64 v[11:12], 2, v[7:8]
	v_lshlrev_b64 v[15:16], 2, v[1:2]
	v_add_nc_u32_e32 v1, v5, v10
	s_delay_alu instid0(VALU_DEP_3) | instskip(NEXT) | instid1(VALU_DEP_4)
	v_add_co_u32 v8, vcc_lo, s25, v11
	v_add_co_ci_u32_e32 v17, vcc_lo, s26, v12, vcc_lo
	v_add_co_u32 v18, vcc_lo, s3, v3
	s_delay_alu instid0(VALU_DEP_4) | instskip(SKIP_3) | instid1(VALU_DEP_1)
	v_lshlrev_b64 v[11:12], 2, v[1:2]
	v_add_co_ci_u32_e32 v19, vcc_lo, s4, v4, vcc_lo
	v_cmp_gt_u32_e32 vcc_lo, s17, v7
	v_mov_b32_e32 v6, v2
	v_lshlrev_b64 v[3:4], 2, v[5:6]
	v_add_co_u32 v6, s0, s25, v11
	s_delay_alu instid0(VALU_DEP_1)
	v_add_co_ci_u32_e64 v20, s0, s26, v12, s0
	v_cmp_gt_u32_e64 s0, s17, v1
	v_subrev_nc_u32_e32 v1, s17, v1
	v_add_co_u32 v11, s1, s25, v3
	v_cndmask_b32_e32 v3, v19, v17, vcc_lo
	v_add_co_ci_u32_e64 v4, s1, s26, v4, s1
	s_delay_alu instid0(VALU_DEP_4) | instskip(SKIP_1) | instid1(VALU_DEP_1)
	v_lshlrev_b64 v[1:2], 2, v[1:2]
	v_add_co_u32 v15, s1, s3, v15
	v_add_co_ci_u32_e64 v12, s1, s4, v16, s1
	v_cmp_gt_u32_e64 s1, s17, v5
	s_delay_alu instid0(VALU_DEP_4) | instskip(NEXT) | instid1(VALU_DEP_1)
	v_add_co_u32 v1, s2, s3, v1
	v_add_co_ci_u32_e64 v16, s2, s4, v2, s2
	v_cndmask_b32_e32 v2, v18, v8, vcc_lo
	s_delay_alu instid0(VALU_DEP_4) | instskip(SKIP_1) | instid1(VALU_DEP_4)
	v_cndmask_b32_e64 v12, v12, v4, s1
	v_cndmask_b32_e64 v11, v15, v11, s1
	;; [unrolled: 1-line block ×4, first 2 shown]
	global_load_b32 v1, v[13:14], off
	global_load_b32 v2, v[2:3], off
	;; [unrolled: 1-line block ×4, first 2 shown]
	s_mov_b32 s0, s15
	s_delay_alu instid0(SALU_CYCLE_1)
	s_and_not1_b32 vcc_lo, exec_lo, s0
	s_cbranch_vccz .LBB18_4
	s_branch .LBB18_11
.LBB18_3:
                                        ; implicit-def: $vgpr1_vgpr2_vgpr3_vgpr4
                                        ; implicit-def: $sgpr5
	s_and_not1_b32 vcc_lo, exec_lo, s0
	s_cbranch_vccnz .LBB18_11
.LBB18_4:
	s_add_i32 s5, s24, s17
	s_mov_b32 s0, exec_lo
                                        ; implicit-def: $vgpr1_vgpr2_vgpr3_vgpr4
	v_cmpx_gt_u32_e64 s5, v0
	s_cbranch_execnz .LBB18_70
; %bb.5:
	s_or_b32 exec_lo, exec_lo, s0
	s_delay_alu instid0(SALU_CYCLE_1)
	s_mov_b32 s1, exec_lo
	v_cmpx_gt_u32_e64 s5, v7
	s_cbranch_execnz .LBB18_71
.LBB18_6:
	s_or_b32 exec_lo, exec_lo, s1
	s_delay_alu instid0(SALU_CYCLE_1)
	s_mov_b32 s0, exec_lo
	v_cmpx_gt_u32_e64 s5, v5
	s_cbranch_execz .LBB18_8
.LBB18_7:
	v_mov_b32_e32 v6, 0
	v_subrev_nc_u32_e32 v7, s17, v5
	s_delay_alu instid0(VALU_DEP_2) | instskip(SKIP_1) | instid1(VALU_DEP_2)
	v_mov_b32_e32 v8, v6
	v_lshlrev_b64 v[11:12], 2, v[5:6]
	v_lshlrev_b64 v[6:7], 2, v[7:8]
	s_waitcnt vmcnt(1)
	s_delay_alu instid0(VALU_DEP_2) | instskip(NEXT) | instid1(VALU_DEP_3)
	v_add_co_u32 v3, vcc_lo, s25, v11
	v_add_co_ci_u32_e32 v8, vcc_lo, s26, v12, vcc_lo
	s_delay_alu instid0(VALU_DEP_3) | instskip(NEXT) | instid1(VALU_DEP_4)
	v_add_co_u32 v6, vcc_lo, s3, v6
	v_add_co_ci_u32_e32 v7, vcc_lo, s4, v7, vcc_lo
	v_cmp_gt_u32_e32 vcc_lo, s17, v5
	s_delay_alu instid0(VALU_DEP_2)
	v_dual_cndmask_b32 v7, v7, v8 :: v_dual_cndmask_b32 v6, v6, v3
	global_load_b32 v3, v[6:7], off
.LBB18_8:
	s_or_b32 exec_lo, exec_lo, s0
	v_add_nc_u32_e32 v5, v5, v10
	s_mov_b32 s1, exec_lo
	s_delay_alu instid0(VALU_DEP_1)
	v_cmpx_gt_u32_e64 s5, v5
	s_cbranch_execz .LBB18_10
; %bb.9:
	v_mov_b32_e32 v6, 0
	s_delay_alu instid0(VALU_DEP_1) | instskip(NEXT) | instid1(VALU_DEP_1)
	v_lshlrev_b64 v[7:8], 2, v[5:6]
	v_add_co_u32 v7, vcc_lo, s25, v7
	s_delay_alu instid0(VALU_DEP_2) | instskip(SKIP_3) | instid1(VALU_DEP_1)
	v_add_co_ci_u32_e32 v8, vcc_lo, s26, v8, vcc_lo
	v_cmp_gt_u32_e32 vcc_lo, s17, v5
	v_subrev_nc_u32_e32 v5, s17, v5
	s_waitcnt vmcnt(0)
	v_lshlrev_b64 v[4:5], 2, v[5:6]
	s_delay_alu instid0(VALU_DEP_1) | instskip(NEXT) | instid1(VALU_DEP_1)
	v_add_co_u32 v4, s0, s3, v4
	v_add_co_ci_u32_e64 v5, s0, s4, v5, s0
	s_delay_alu instid0(VALU_DEP_1)
	v_dual_cndmask_b32 v4, v4, v7 :: v_dual_cndmask_b32 v5, v5, v8
	global_load_b32 v4, v[4:5], off
.LBB18_10:
	s_or_b32 exec_lo, exec_lo, s1
.LBB18_11:
	v_min_u32_e32 v6, s5, v9
	s_mov_b32 s0, exec_lo
	s_waitcnt vmcnt(0)
	ds_store_2addr_stride64_b32 v9, v1, v2 offset1:4
	ds_store_2addr_stride64_b32 v9, v3, v4 offset0:8 offset1:12
	s_waitcnt lgkmcnt(0)
	s_barrier
	v_sub_nc_u32_e64 v5, v6, s24 clamp
	v_min_u32_e32 v7, s17, v6
	buffer_gl0_inv
	v_cmpx_lt_u32_e64 v5, v7
	s_cbranch_execz .LBB18_15
; %bb.12:
	v_lshlrev_b32_e32 v8, 2, v6
	s_mov_b32 s1, 0
	s_delay_alu instid0(VALU_DEP_1)
	v_lshl_add_u32 v8, s17, 2, v8
	.p2align	6
.LBB18_13:                              ; =>This Inner Loop Header: Depth=1
	v_add_nc_u32_e32 v10, v7, v5
	s_delay_alu instid0(VALU_DEP_1) | instskip(NEXT) | instid1(VALU_DEP_1)
	v_lshrrev_b32_e32 v10, 1, v10
	v_not_b32_e32 v11, v10
	v_add_nc_u32_e32 v13, 1, v10
	v_lshlrev_b32_e32 v12, 2, v10
	s_delay_alu instid0(VALU_DEP_3)
	v_lshl_add_u32 v11, v11, 2, v8
	ds_load_b32 v12, v12
	ds_load_b32 v11, v11
	s_waitcnt lgkmcnt(0)
	v_cmp_gt_i32_e32 vcc_lo, v12, v11
	v_cndmask_b32_e32 v5, v13, v5, vcc_lo
	v_cndmask_b32_e32 v7, v7, v10, vcc_lo
	s_delay_alu instid0(VALU_DEP_1) | instskip(SKIP_1) | instid1(SALU_CYCLE_1)
	v_cmp_ge_u32_e32 vcc_lo, v5, v7
	s_or_b32 s1, vcc_lo, s1
	s_and_not1_b32 exec_lo, exec_lo, s1
	s_cbranch_execnz .LBB18_13
; %bb.14:
	s_or_b32 exec_lo, exec_lo, s1
.LBB18_15:
	s_delay_alu instid0(SALU_CYCLE_1) | instskip(SKIP_2) | instid1(VALU_DEP_2)
	s_or_b32 exec_lo, exec_lo, s0
	v_sub_nc_u32_e32 v6, v6, v5
	v_cmp_ge_u32_e32 vcc_lo, s17, v5
                                        ; implicit-def: $vgpr11
                                        ; implicit-def: $vgpr14
                                        ; implicit-def: $vgpr13
                                        ; implicit-def: $vgpr12
	v_add_nc_u32_e32 v6, s17, v6
	s_delay_alu instid0(VALU_DEP_1) | instskip(NEXT) | instid1(VALU_DEP_1)
	v_cmp_ge_u32_e64 s0, s5, v6
	s_or_b32 s0, vcc_lo, s0
	s_delay_alu instid0(SALU_CYCLE_1)
	s_and_saveexec_b32 s13, s0
	s_cbranch_execz .LBB18_21
; %bb.16:
	v_cmp_gt_u32_e32 vcc_lo, s17, v5
                                        ; implicit-def: $vgpr1
	s_and_saveexec_b32 s0, vcc_lo
	s_cbranch_execz .LBB18_18
; %bb.17:
	v_lshlrev_b32_e32 v1, 2, v5
	ds_load_b32 v1, v1
.LBB18_18:
	s_or_b32 exec_lo, exec_lo, s0
	v_cmp_le_u32_e64 s0, s5, v6
	s_mov_b32 s2, exec_lo
                                        ; implicit-def: $vgpr2
	v_cmpx_gt_u32_e64 s5, v6
	s_cbranch_execz .LBB18_20
; %bb.19:
	v_lshlrev_b32_e32 v2, 2, v6
	ds_load_b32 v2, v2
.LBB18_20:
	s_or_b32 exec_lo, exec_lo, s2
	s_waitcnt lgkmcnt(0)
	v_cmp_le_i32_e64 s1, v1, v2
	s_delay_alu instid0(VALU_DEP_1) | instskip(NEXT) | instid1(SALU_CYCLE_1)
	s_and_b32 s1, vcc_lo, s1
	s_or_b32 vcc_lo, s0, s1
	v_dual_mov_b32 v3, s17 :: v_dual_cndmask_b32 v12, v6, v5
	s_delay_alu instid0(VALU_DEP_1) | instskip(NEXT) | instid1(VALU_DEP_1)
	v_dual_cndmask_b32 v4, s5, v3 :: v_dual_add_nc_u32 v7, 1, v12
	v_dual_cndmask_b32 v5, v5, v7 :: v_dual_add_nc_u32 v4, -1, v4
	v_cndmask_b32_e32 v6, v7, v6, vcc_lo
	s_delay_alu instid0(VALU_DEP_2) | instskip(NEXT) | instid1(VALU_DEP_3)
	v_min_u32_e32 v4, v7, v4
	v_cmp_gt_u32_e64 s0, s17, v5
	s_delay_alu instid0(VALU_DEP_3) | instskip(NEXT) | instid1(VALU_DEP_3)
	v_cmp_le_u32_e64 s2, s5, v6
	v_lshlrev_b32_e32 v4, 2, v4
	ds_load_b32 v4, v4
	s_waitcnt lgkmcnt(0)
	v_cndmask_b32_e32 v8, v4, v2, vcc_lo
	v_dual_cndmask_b32 v4, v1, v4 :: v_dual_cndmask_b32 v1, v2, v1
	s_delay_alu instid0(VALU_DEP_1) | instskip(NEXT) | instid1(VALU_DEP_1)
	v_cmp_le_i32_e64 s1, v4, v8
	s_and_b32 s0, s0, s1
	s_delay_alu instid0(SALU_CYCLE_1) | instskip(NEXT) | instid1(SALU_CYCLE_1)
	s_or_b32 s0, s2, s0
	v_cndmask_b32_e64 v13, v6, v5, s0
	v_cndmask_b32_e64 v7, s5, v3, s0
	s_delay_alu instid0(VALU_DEP_2) | instskip(NEXT) | instid1(VALU_DEP_2)
	v_add_nc_u32_e32 v10, 1, v13
	v_add_nc_u32_e32 v7, -1, v7
	s_delay_alu instid0(VALU_DEP_2) | instskip(NEXT) | instid1(VALU_DEP_2)
	v_cndmask_b32_e64 v5, v5, v10, s0
	v_min_u32_e32 v7, v10, v7
	v_cndmask_b32_e64 v6, v10, v6, s0
	s_delay_alu instid0(VALU_DEP_3) | instskip(NEXT) | instid1(VALU_DEP_3)
	v_cmp_gt_u32_e64 s1, s17, v5
	v_lshlrev_b32_e32 v7, 2, v7
	s_delay_alu instid0(VALU_DEP_3)
	v_cmp_le_u32_e64 s3, s5, v6
	v_cndmask_b32_e64 v2, v8, v4, s0
	ds_load_b32 v7, v7
	s_waitcnt lgkmcnt(0)
	v_cndmask_b32_e64 v11, v7, v8, s0
	v_cndmask_b32_e64 v7, v4, v7, s0
	s_delay_alu instid0(VALU_DEP_1) | instskip(NEXT) | instid1(VALU_DEP_1)
	v_cmp_le_i32_e64 s2, v7, v11
	s_and_b32 s1, s1, s2
	s_delay_alu instid0(SALU_CYCLE_1) | instskip(NEXT) | instid1(SALU_CYCLE_1)
	s_or_b32 s1, s3, s1
	v_cndmask_b32_e64 v14, v6, v5, s1
	v_cndmask_b32_e64 v3, s5, v3, s1
	s_delay_alu instid0(VALU_DEP_2) | instskip(NEXT) | instid1(VALU_DEP_2)
	v_add_nc_u32_e32 v10, 1, v14
	v_add_nc_u32_e32 v3, -1, v3
	s_delay_alu instid0(VALU_DEP_2) | instskip(NEXT) | instid1(VALU_DEP_2)
	v_cndmask_b32_e64 v5, v5, v10, s1
	v_min_u32_e32 v3, v10, v3
	v_cndmask_b32_e64 v6, v10, v6, s1
	s_delay_alu instid0(VALU_DEP_3) | instskip(NEXT) | instid1(VALU_DEP_3)
	v_cmp_gt_u32_e64 s2, s17, v5
	v_lshlrev_b32_e32 v3, 2, v3
	s_delay_alu instid0(VALU_DEP_3)
	v_cmp_le_u32_e64 s4, s5, v6
	ds_load_b32 v3, v3
	s_waitcnt lgkmcnt(0)
	v_cndmask_b32_e64 v15, v3, v11, s1
	v_cndmask_b32_e64 v16, v7, v3, s1
	;; [unrolled: 1-line block ×3, first 2 shown]
	s_delay_alu instid0(VALU_DEP_2) | instskip(NEXT) | instid1(VALU_DEP_1)
	v_cmp_le_i32_e64 s3, v16, v15
	s_and_b32 s0, s2, s3
	s_delay_alu instid0(SALU_CYCLE_1)
	s_or_b32 vcc_lo, s4, s0
	v_dual_cndmask_b32 v4, v15, v16 :: v_dual_cndmask_b32 v11, v6, v5
.LBB18_21:
	s_or_b32 exec_lo, exec_lo, s13
	s_add_u32 s3, s8, s14
	v_cmp_gt_u32_e64 s1, s17, v0
	v_cmp_le_u32_e64 s0, s17, v0
	v_or_b32_e32 v10, 0x100, v0
	v_or_b32_e32 v8, 0x200, v0
	;; [unrolled: 1-line block ×3, first 2 shown]
	s_addc_u32 s4, s9, 0
	s_add_u32 s13, s8, s18
	s_mov_b32 s2, 0
	s_addc_u32 s20, s9, 0
	s_and_not1_b32 vcc_lo, exec_lo, s23
	s_barrier
	buffer_gl0_inv
	s_cbranch_vccnz .LBB18_23
; %bb.22:
	v_subrev_nc_u32_e32 v5, s17, v0
	v_or_b32_e32 v15, 0x100, v0
	v_or_b32_e32 v21, 0x200, v0
	s_delay_alu instid0(VALU_DEP_3) | instskip(NEXT) | instid1(VALU_DEP_1)
	v_add_co_u32 v5, s2, s13, v5
	v_add_co_ci_u32_e64 v6, null, s20, 0, s2
	v_add_co_u32 v19, s2, s3, v0
	s_delay_alu instid0(VALU_DEP_1) | instskip(SKIP_1) | instid1(VALU_DEP_3)
	v_add_co_ci_u32_e64 v20, null, s4, 0, s2
	v_subrev_nc_u32_e32 v16, s17, v15
	v_add_co_u32 v17, vcc_lo, 0x100, v19
	s_delay_alu instid0(VALU_DEP_3) | instskip(NEXT) | instid1(VALU_DEP_3)
	v_add_co_ci_u32_e32 v18, vcc_lo, 0, v20, vcc_lo
	v_add_co_u32 v22, s2, s13, v16
	v_cmp_gt_u32_e32 vcc_lo, s17, v15
	v_subrev_nc_u32_e32 v15, s17, v21
	v_add_co_ci_u32_e64 v16, null, s20, 0, s2
	v_add_co_u32 v23, s2, 0x200, v19
	s_delay_alu instid0(VALU_DEP_1) | instskip(NEXT) | instid1(VALU_DEP_4)
	v_add_co_ci_u32_e64 v24, s2, 0, v20, s2
	v_add_co_u32 v25, s2, s13, v15
	s_delay_alu instid0(VALU_DEP_1) | instskip(SKIP_4) | instid1(VALU_DEP_4)
	v_add_co_ci_u32_e64 v26, null, s20, 0, s2
	v_cmp_gt_u32_e64 s2, s17, v21
	v_cndmask_b32_e64 v6, v6, v20, s1
	v_cndmask_b32_e64 v5, v5, v19, s1
	v_dual_cndmask_b32 v16, v16, v18 :: v_dual_cndmask_b32 v15, v22, v17
	v_cndmask_b32_e64 v18, v26, v24, s2
	v_cndmask_b32_e64 v17, v25, v23, s2
	global_load_u8 v21, v[5:6], off
	global_load_u8 v16, v[15:16], off
	;; [unrolled: 1-line block ×3, first 2 shown]
	v_or_b32_e32 v15, 0x300, v0
	v_add_co_u32 v18, vcc_lo, 0x300, v19
	v_add_co_ci_u32_e32 v6, vcc_lo, 0, v20, vcc_lo
	s_delay_alu instid0(VALU_DEP_3)
	v_subrev_nc_u32_e32 v5, s17, v15
	v_cmp_gt_u32_e32 vcc_lo, s17, v15
	s_mov_b32 s2, -1
	s_waitcnt vmcnt(2)
	ds_store_b8 v0, v21
	s_waitcnt vmcnt(1)
	ds_store_b8 v0, v16 offset:256
	s_waitcnt vmcnt(0)
	ds_store_b8 v0, v17 offset:512
	v_add_co_u32 v5, s1, s13, v5
	s_delay_alu instid0(VALU_DEP_1) | instskip(NEXT) | instid1(VALU_DEP_2)
	v_add_co_ci_u32_e64 v19, null, s20, 0, s1
	v_cndmask_b32_e32 v5, v5, v18, vcc_lo
	s_delay_alu instid0(VALU_DEP_2)
	v_cndmask_b32_e32 v6, v19, v6, vcc_lo
	s_cbranch_execz .LBB18_24
	s_branch .LBB18_43
.LBB18_23:
                                        ; implicit-def: $vgpr15
                                        ; implicit-def: $vgpr5_vgpr6
.LBB18_24:
	s_mov_b32 s1, 0
                                        ; implicit-def: $vgpr5_vgpr6
	s_and_saveexec_b32 s21, s0
	s_delay_alu instid0(SALU_CYCLE_1)
	s_xor_b32 s0, exec_lo, s21
	s_cbranch_execnz .LBB18_72
; %bb.25:
	s_and_not1_saveexec_b32 s0, s0
	s_cbranch_execnz .LBB18_75
.LBB18_26:
	s_or_b32 exec_lo, exec_lo, s0
	s_and_saveexec_b32 s0, s1
	s_cbranch_execz .LBB18_28
.LBB18_27:
	global_load_u8 v5, v[5:6], off
	s_waitcnt vmcnt(0)
	ds_store_b8 v0, v5
.LBB18_28:
	s_or_b32 exec_lo, exec_lo, s0
	v_dual_mov_b32 v5, s14 :: v_dual_mov_b32 v6, s15
	v_mov_b32_e32 v15, v10
	s_mov_b32 s0, -1
	s_mov_b32 s1, exec_lo
	v_cmpx_le_u32_e64 s17, v10
; %bb.29:
	v_subrev_nc_u32_e32 v15, s17, v10
	v_dual_mov_b32 v5, s18 :: v_dual_mov_b32 v6, s19
	s_delay_alu instid0(VALU_DEP_2)
	v_cmp_gt_u32_e32 vcc_lo, s24, v15
	s_or_not1_b32 s0, vcc_lo, exec_lo
; %bb.30:
	s_or_b32 exec_lo, exec_lo, s1
	s_and_saveexec_b32 s1, s0
	s_cbranch_execz .LBB18_32
; %bb.31:
	v_add_co_u32 v5, vcc_lo, s8, v5
	v_add_co_ci_u32_e32 v6, vcc_lo, s9, v6, vcc_lo
	s_delay_alu instid0(VALU_DEP_2) | instskip(NEXT) | instid1(VALU_DEP_2)
	v_add_co_u32 v5, vcc_lo, v5, v15
	v_add_co_ci_u32_e32 v6, vcc_lo, 0, v6, vcc_lo
	global_load_u8 v5, v[5:6], off
	s_waitcnt vmcnt(0)
	ds_store_b8 v0, v5 offset:256
.LBB18_32:
	s_or_b32 exec_lo, exec_lo, s1
	v_dual_mov_b32 v5, s14 :: v_dual_mov_b32 v6, s15
	v_mov_b32_e32 v15, v8
	s_mov_b32 s0, -1
	s_mov_b32 s1, exec_lo
	v_cmpx_le_u32_e64 s17, v8
; %bb.33:
	v_subrev_nc_u32_e32 v15, s17, v8
	v_dual_mov_b32 v5, s18 :: v_dual_mov_b32 v6, s19
	s_delay_alu instid0(VALU_DEP_2)
	v_cmp_gt_u32_e32 vcc_lo, s24, v15
	s_or_not1_b32 s0, vcc_lo, exec_lo
; %bb.34:
	s_or_b32 exec_lo, exec_lo, s1
	s_and_saveexec_b32 s1, s0
	s_cbranch_execz .LBB18_36
; %bb.35:
	v_add_co_u32 v5, vcc_lo, s8, v5
	v_add_co_ci_u32_e32 v6, vcc_lo, s9, v6, vcc_lo
	s_delay_alu instid0(VALU_DEP_2) | instskip(NEXT) | instid1(VALU_DEP_2)
	v_add_co_u32 v5, vcc_lo, v5, v15
	v_add_co_ci_u32_e32 v6, vcc_lo, 0, v6, vcc_lo
	global_load_u8 v5, v[5:6], off
	s_waitcnt vmcnt(0)
	ds_store_b8 v0, v5 offset:512
.LBB18_36:
	s_or_b32 exec_lo, exec_lo, s1
	s_delay_alu instid0(SALU_CYCLE_1)
	s_mov_b32 s0, exec_lo
                                        ; implicit-def: $vgpr15
                                        ; implicit-def: $vgpr5_vgpr6
	v_cmpx_le_u32_e64 s17, v7
	s_xor_b32 s0, exec_lo, s0
	s_cbranch_execz .LBB18_40
; %bb.37:
	v_subrev_nc_u32_e32 v16, s17, v7
	s_mov_b32 s1, s2
	s_mov_b32 s8, exec_lo
                                        ; implicit-def: $vgpr15
                                        ; implicit-def: $vgpr5_vgpr6
	s_delay_alu instid0(VALU_DEP_1)
	v_cmpx_gt_u32_e64 s24, v16
; %bb.38:
	v_add_co_u32 v5, s1, s13, v16
	v_or_b32_e32 v15, 0x300, v0
	v_add_co_ci_u32_e64 v6, null, s20, 0, s1
	s_or_b32 s1, s2, exec_lo
; %bb.39:
	s_or_b32 exec_lo, exec_lo, s8
	s_delay_alu instid0(SALU_CYCLE_1) | instskip(SKIP_1) | instid1(SALU_CYCLE_1)
	s_and_not1_b32 s2, s2, exec_lo
	s_and_b32 s1, s1, exec_lo
	s_or_b32 s2, s2, s1
.LBB18_40:
	s_and_not1_saveexec_b32 s0, s0
; %bb.41:
	v_add_co_u32 v5, s1, s3, v0
	s_delay_alu instid0(VALU_DEP_1) | instskip(SKIP_1) | instid1(VALU_DEP_3)
	v_add_co_ci_u32_e64 v6, null, s4, 0, s1
	v_mov_b32_e32 v15, v7
	v_add_co_u32 v5, vcc_lo, 0x300, v5
	s_delay_alu instid0(VALU_DEP_3)
	v_add_co_ci_u32_e32 v6, vcc_lo, 0, v6, vcc_lo
	s_or_b32 s2, s2, exec_lo
; %bb.42:
	s_or_b32 exec_lo, exec_lo, s0
.LBB18_43:
	s_and_saveexec_b32 s0, s2
	s_cbranch_execz .LBB18_45
; %bb.44:
	global_load_u8 v5, v[5:6], off
	s_waitcnt vmcnt(0)
	ds_store_b8 v15, v5
.LBB18_45:
	s_or_b32 exec_lo, exec_lo, s0
	v_add_nc_u32_e32 v15, s12, v9
	s_and_not1_b32 vcc_lo, exec_lo, s23
	s_waitcnt lgkmcnt(0)
	s_barrier
	buffer_gl0_inv
	s_cbranch_vccnz .LBB18_47
; %bb.46:
	ds_load_u8 v5, v13
	ds_load_u8 v6, v12
	ds_load_u8 v16, v14
	s_mov_b32 s0, -1
	s_waitcnt lgkmcnt(2)
	v_lshlrev_b16 v5, 8, v5
	s_waitcnt lgkmcnt(1)
	s_delay_alu instid0(VALU_DEP_1)
	v_or_b32_e32 v5, v6, v5
	v_mov_b32_e32 v6, 0
	s_waitcnt lgkmcnt(0)
	s_clause 0x1
	global_store_b8 v15, v16, s[10:11] offset:2
	global_store_b16 v15, v5, s[10:11]
	s_cbranch_execz .LBB18_48
	s_branch .LBB18_57
.LBB18_47:
	s_mov_b32 s0, 0
                                        ; implicit-def: $vgpr5_vgpr6
.LBB18_48:
	s_mov_b32 s1, exec_lo
	v_cmpx_gt_u32_e64 s5, v9
	s_cbranch_execz .LBB18_50
; %bb.49:
	ds_load_u8 v5, v12
	s_waitcnt lgkmcnt(0)
	global_store_b8 v15, v5, s[10:11]
.LBB18_50:
	s_or_b32 exec_lo, exec_lo, s1
	v_or_b32_e32 v5, 1, v9
	s_mov_b32 s1, exec_lo
	s_delay_alu instid0(VALU_DEP_1)
	v_cmpx_gt_u32_e64 s5, v5
	s_cbranch_execz .LBB18_52
; %bb.51:
	ds_load_u8 v5, v13
	s_waitcnt lgkmcnt(0)
	global_store_b8 v15, v5, s[10:11] offset:1
.LBB18_52:
	s_or_b32 exec_lo, exec_lo, s1
	v_or_b32_e32 v5, 2, v9
	s_mov_b32 s1, exec_lo
	s_delay_alu instid0(VALU_DEP_1)
	v_cmpx_gt_u32_e64 s5, v5
	s_cbranch_execz .LBB18_54
; %bb.53:
	ds_load_u8 v5, v14
	s_waitcnt lgkmcnt(0)
	global_store_b8 v15, v5, s[10:11] offset:2
.LBB18_54:
	s_or_b32 exec_lo, exec_lo, s1
	v_or_b32_e32 v5, 3, v9
	s_mov_b32 s1, exec_lo
	s_delay_alu instid0(VALU_DEP_1)
	v_cmpx_gt_u32_e64 s5, v5
                                        ; implicit-def: $vgpr5_vgpr6
; %bb.55:
	v_mov_b32_e32 v6, 0
	s_or_b32 s0, s0, exec_lo
; %bb.56:
	s_or_b32 exec_lo, exec_lo, s1
.LBB18_57:
	s_and_saveexec_b32 s1, s0
	s_cbranch_execz .LBB18_59
; %bb.58:
	ds_load_u8 v11, v11
	v_add_co_u32 v5, vcc_lo, s10, v15
	v_add_co_ci_u32_e32 v6, vcc_lo, s11, v6, vcc_lo
	s_waitcnt lgkmcnt(0)
	global_store_b8 v[5:6], v11, off offset:3
.LBB18_59:
	s_or_b32 exec_lo, exec_lo, s1
	v_lshrrev_b32_e32 v5, 3, v0
	v_lshlrev_b32_e32 v6, 2, v9
	v_lshrrev_b32_e32 v11, 3, v10
	v_lshrrev_b32_e32 v12, 3, v8
	;; [unrolled: 1-line block ×3, first 2 shown]
	s_mov_b32 s13, 0
	v_lshl_add_u32 v6, v5, 2, v6
	s_lshl_b64 s[0:1], s[12:13], 2
	v_and_b32_e32 v5, 28, v5
	v_and_b32_e32 v11, 60, v11
	;; [unrolled: 1-line block ×4, first 2 shown]
	s_add_u32 s0, s6, s0
	s_waitcnt_vscnt null, 0x0
	s_barrier
	buffer_gl0_inv
	s_barrier
	buffer_gl0_inv
	s_addc_u32 s1, s7, s1
	ds_store_2addr_b32 v6, v1, v2 offset1:1
	ds_store_2addr_b32 v6, v3, v4 offset0:2 offset1:3
	v_add_co_u32 v1, s0, s0, v9
	v_add_nc_u32_e32 v4, v9, v5
	v_add_nc_u32_e32 v5, v9, v11
	;; [unrolled: 1-line block ×4, first 2 shown]
	v_add_co_ci_u32_e64 v2, null, s1, 0, s0
	s_and_b32 vcc_lo, exec_lo, s23
	s_waitcnt lgkmcnt(0)
	s_cbranch_vccz .LBB18_61
; %bb.60:
	s_barrier
	buffer_gl0_inv
	ds_load_b32 v9, v4
	ds_load_b32 v12, v5 offset:1024
	ds_load_b32 v13, v6 offset:2048
	;; [unrolled: 1-line block ×3, first 2 shown]
	s_mov_b32 s13, -1
	s_waitcnt lgkmcnt(3)
	global_store_b32 v[1:2], v9, off
	s_waitcnt lgkmcnt(2)
	global_store_b32 v[1:2], v12, off offset:1024
	s_waitcnt lgkmcnt(1)
	global_store_b32 v[1:2], v13, off offset:2048
	s_cbranch_execz .LBB18_62
	s_branch .LBB18_67
.LBB18_61:
                                        ; implicit-def: $vgpr3
.LBB18_62:
	s_waitcnt lgkmcnt(0)
	s_waitcnt_vscnt null, 0x0
	s_barrier
	buffer_gl0_inv
	ds_load_b32 v9, v5 offset:1024
	ds_load_b32 v5, v6 offset:2048
	;; [unrolled: 1-line block ×3, first 2 shown]
	s_sub_i32 s0, s16, s12
	s_mov_b32 s1, exec_lo
	v_cmpx_gt_u32_e64 s0, v0
	s_cbranch_execnz .LBB18_76
; %bb.63:
	s_or_b32 exec_lo, exec_lo, s1
	s_delay_alu instid0(SALU_CYCLE_1)
	s_mov_b32 s1, exec_lo
	v_cmpx_gt_u32_e64 s0, v10
	s_cbranch_execnz .LBB18_77
.LBB18_64:
	s_or_b32 exec_lo, exec_lo, s1
	s_delay_alu instid0(SALU_CYCLE_1)
	s_mov_b32 s1, exec_lo
	v_cmpx_gt_u32_e64 s0, v8
	s_cbranch_execz .LBB18_66
.LBB18_65:
	s_waitcnt lgkmcnt(1)
	global_store_b32 v[1:2], v5, off offset:2048
.LBB18_66:
	s_or_b32 exec_lo, exec_lo, s1
	v_cmp_gt_u32_e64 s13, s0, v7
.LBB18_67:
	s_delay_alu instid0(VALU_DEP_1)
	s_and_saveexec_b32 s0, s13
	s_cbranch_execz .LBB18_69
; %bb.68:
	s_waitcnt lgkmcnt(0)
	global_store_b32 v[1:2], v3, off offset:3072
.LBB18_69:
	s_nop 0
	s_sendmsg sendmsg(MSG_DEALLOC_VGPRS)
	s_endpgm
.LBB18_70:
	s_waitcnt vmcnt(3)
	v_subrev_nc_u32_e32 v1, s17, v0
	s_waitcnt vmcnt(1)
	v_add_co_u32 v3, s1, s25, v9
	v_mov_b32_e32 v2, 0
	s_waitcnt vmcnt(0)
	v_add_co_ci_u32_e64 v4, null, s26, 0, s1
	s_delay_alu instid0(VALU_DEP_2) | instskip(NEXT) | instid1(VALU_DEP_1)
	v_lshlrev_b64 v[1:2], 2, v[1:2]
	v_add_co_u32 v1, vcc_lo, s3, v1
	s_delay_alu instid0(VALU_DEP_2) | instskip(SKIP_1) | instid1(VALU_DEP_2)
	v_add_co_ci_u32_e32 v2, vcc_lo, s4, v2, vcc_lo
	v_cmp_gt_u32_e32 vcc_lo, s17, v0
	v_dual_cndmask_b32 v1, v1, v3 :: v_dual_cndmask_b32 v2, v2, v4
	global_load_b32 v1, v[1:2], off
	s_or_b32 exec_lo, exec_lo, s0
	s_delay_alu instid0(SALU_CYCLE_1)
	s_mov_b32 s1, exec_lo
	v_cmpx_gt_u32_e64 s5, v7
	s_cbranch_execz .LBB18_6
.LBB18_71:
	v_mov_b32_e32 v8, 0
	s_delay_alu instid0(VALU_DEP_1) | instskip(SKIP_1) | instid1(VALU_DEP_1)
	v_lshlrev_b64 v[11:12], 2, v[7:8]
	s_waitcnt vmcnt(2)
	v_add_co_u32 v2, vcc_lo, s25, v11
	s_delay_alu instid0(VALU_DEP_2) | instskip(SKIP_2) | instid1(VALU_DEP_1)
	v_add_co_ci_u32_e32 v11, vcc_lo, s26, v12, vcc_lo
	v_cmp_gt_u32_e32 vcc_lo, s17, v7
	v_subrev_nc_u32_e32 v7, s17, v7
	v_lshlrev_b64 v[6:7], 2, v[7:8]
	s_delay_alu instid0(VALU_DEP_1) | instskip(NEXT) | instid1(VALU_DEP_1)
	v_add_co_u32 v6, s0, s3, v6
	v_add_co_ci_u32_e64 v7, s0, s4, v7, s0
	s_delay_alu instid0(VALU_DEP_1) | instskip(SKIP_2) | instid1(SALU_CYCLE_1)
	v_dual_cndmask_b32 v6, v6, v2 :: v_dual_cndmask_b32 v7, v7, v11
	global_load_b32 v2, v[6:7], off
	s_or_b32 exec_lo, exec_lo, s1
	s_mov_b32 s0, exec_lo
	v_cmpx_gt_u32_e64 s5, v5
	s_cbranch_execnz .LBB18_7
	s_branch .LBB18_8
.LBB18_72:
	v_subrev_nc_u32_e32 v15, s17, v0
	s_mov_b32 s21, exec_lo
                                        ; implicit-def: $vgpr5_vgpr6
	s_delay_alu instid0(VALU_DEP_1)
	v_cmpx_gt_u32_e64 s24, v15
	s_xor_b32 s21, exec_lo, s21
; %bb.73:
	v_add_co_u32 v5, s22, s13, v15
	s_mov_b32 s1, exec_lo
	v_add_co_ci_u32_e64 v6, null, s20, 0, s22
; %bb.74:
	s_or_b32 exec_lo, exec_lo, s21
	s_delay_alu instid0(SALU_CYCLE_1)
	s_and_b32 s1, s1, exec_lo
	s_and_not1_saveexec_b32 s0, s0
	s_cbranch_execz .LBB18_26
.LBB18_75:
	v_add_co_u32 v5, s21, s3, v0
	s_delay_alu instid0(VALU_DEP_1)
	v_add_co_ci_u32_e64 v6, null, s4, 0, s21
	s_or_b32 s1, s1, exec_lo
	s_or_b32 exec_lo, exec_lo, s0
	s_and_saveexec_b32 s0, s1
	s_cbranch_execnz .LBB18_27
	s_branch .LBB18_28
.LBB18_76:
	ds_load_b32 v0, v4
	s_waitcnt lgkmcnt(0)
	global_store_b32 v[1:2], v0, off
	s_or_b32 exec_lo, exec_lo, s1
	s_delay_alu instid0(SALU_CYCLE_1)
	s_mov_b32 s1, exec_lo
	v_cmpx_gt_u32_e64 s0, v10
	s_cbranch_execz .LBB18_64
.LBB18_77:
	s_waitcnt lgkmcnt(2)
	global_store_b32 v[1:2], v9, off offset:1024
	s_or_b32 exec_lo, exec_lo, s1
	s_delay_alu instid0(SALU_CYCLE_1)
	s_mov_b32 s1, exec_lo
	v_cmpx_gt_u32_e64 s0, v8
	s_cbranch_execnz .LBB18_65
	s_branch .LBB18_66
	.section	.rodata,"a",@progbits
	.p2align	6, 0x0
	.amdhsa_kernel _ZN7rocprim17ROCPRIM_304000_NS6detail35device_block_merge_mergepath_kernelINS1_37wrapped_merge_sort_block_merge_configINS0_14default_configEiN2at4cuda3cub6detail10OpaqueTypeILi1EEEEEPiSC_PSA_SD_jNS1_19radix_merge_compareILb0ELb0EiNS0_19identity_decomposerEEEEEvT0_T1_T2_T3_T4_SL_jT5_PKSL_NS1_7vsmem_tE
		.amdhsa_group_segment_fixed_size 4224
		.amdhsa_private_segment_fixed_size 0
		.amdhsa_kernarg_size 320
		.amdhsa_user_sgpr_count 13
		.amdhsa_user_sgpr_dispatch_ptr 0
		.amdhsa_user_sgpr_queue_ptr 0
		.amdhsa_user_sgpr_kernarg_segment_ptr 1
		.amdhsa_user_sgpr_dispatch_id 0
		.amdhsa_user_sgpr_private_segment_size 0
		.amdhsa_wavefront_size32 1
		.amdhsa_uses_dynamic_stack 0
		.amdhsa_enable_private_segment 0
		.amdhsa_system_sgpr_workgroup_id_x 1
		.amdhsa_system_sgpr_workgroup_id_y 1
		.amdhsa_system_sgpr_workgroup_id_z 1
		.amdhsa_system_sgpr_workgroup_info 0
		.amdhsa_system_vgpr_workitem_id 0
		.amdhsa_next_free_vgpr 27
		.amdhsa_next_free_sgpr 28
		.amdhsa_reserve_vcc 1
		.amdhsa_float_round_mode_32 0
		.amdhsa_float_round_mode_16_64 0
		.amdhsa_float_denorm_mode_32 3
		.amdhsa_float_denorm_mode_16_64 3
		.amdhsa_dx10_clamp 1
		.amdhsa_ieee_mode 1
		.amdhsa_fp16_overflow 0
		.amdhsa_workgroup_processor_mode 1
		.amdhsa_memory_ordered 1
		.amdhsa_forward_progress 0
		.amdhsa_shared_vgpr_count 0
		.amdhsa_exception_fp_ieee_invalid_op 0
		.amdhsa_exception_fp_denorm_src 0
		.amdhsa_exception_fp_ieee_div_zero 0
		.amdhsa_exception_fp_ieee_overflow 0
		.amdhsa_exception_fp_ieee_underflow 0
		.amdhsa_exception_fp_ieee_inexact 0
		.amdhsa_exception_int_div_zero 0
	.end_amdhsa_kernel
	.section	.text._ZN7rocprim17ROCPRIM_304000_NS6detail35device_block_merge_mergepath_kernelINS1_37wrapped_merge_sort_block_merge_configINS0_14default_configEiN2at4cuda3cub6detail10OpaqueTypeILi1EEEEEPiSC_PSA_SD_jNS1_19radix_merge_compareILb0ELb0EiNS0_19identity_decomposerEEEEEvT0_T1_T2_T3_T4_SL_jT5_PKSL_NS1_7vsmem_tE,"axG",@progbits,_ZN7rocprim17ROCPRIM_304000_NS6detail35device_block_merge_mergepath_kernelINS1_37wrapped_merge_sort_block_merge_configINS0_14default_configEiN2at4cuda3cub6detail10OpaqueTypeILi1EEEEEPiSC_PSA_SD_jNS1_19radix_merge_compareILb0ELb0EiNS0_19identity_decomposerEEEEEvT0_T1_T2_T3_T4_SL_jT5_PKSL_NS1_7vsmem_tE,comdat
.Lfunc_end18:
	.size	_ZN7rocprim17ROCPRIM_304000_NS6detail35device_block_merge_mergepath_kernelINS1_37wrapped_merge_sort_block_merge_configINS0_14default_configEiN2at4cuda3cub6detail10OpaqueTypeILi1EEEEEPiSC_PSA_SD_jNS1_19radix_merge_compareILb0ELb0EiNS0_19identity_decomposerEEEEEvT0_T1_T2_T3_T4_SL_jT5_PKSL_NS1_7vsmem_tE, .Lfunc_end18-_ZN7rocprim17ROCPRIM_304000_NS6detail35device_block_merge_mergepath_kernelINS1_37wrapped_merge_sort_block_merge_configINS0_14default_configEiN2at4cuda3cub6detail10OpaqueTypeILi1EEEEEPiSC_PSA_SD_jNS1_19radix_merge_compareILb0ELb0EiNS0_19identity_decomposerEEEEEvT0_T1_T2_T3_T4_SL_jT5_PKSL_NS1_7vsmem_tE
                                        ; -- End function
	.section	.AMDGPU.csdata,"",@progbits
; Kernel info:
; codeLenInByte = 3820
; NumSgprs: 30
; NumVgprs: 27
; ScratchSize: 0
; MemoryBound: 0
; FloatMode: 240
; IeeeMode: 1
; LDSByteSize: 4224 bytes/workgroup (compile time only)
; SGPRBlocks: 3
; VGPRBlocks: 3
; NumSGPRsForWavesPerEU: 30
; NumVGPRsForWavesPerEU: 27
; Occupancy: 16
; WaveLimiterHint : 1
; COMPUTE_PGM_RSRC2:SCRATCH_EN: 0
; COMPUTE_PGM_RSRC2:USER_SGPR: 13
; COMPUTE_PGM_RSRC2:TRAP_HANDLER: 0
; COMPUTE_PGM_RSRC2:TGID_X_EN: 1
; COMPUTE_PGM_RSRC2:TGID_Y_EN: 1
; COMPUTE_PGM_RSRC2:TGID_Z_EN: 1
; COMPUTE_PGM_RSRC2:TIDIG_COMP_CNT: 0
	.section	.text._ZN7rocprim17ROCPRIM_304000_NS6detail33device_block_merge_oddeven_kernelINS1_37wrapped_merge_sort_block_merge_configINS0_14default_configEiN2at4cuda3cub6detail10OpaqueTypeILi1EEEEEPiSC_PSA_SD_jNS1_19radix_merge_compareILb0ELb0EiNS0_19identity_decomposerEEEEEvT0_T1_T2_T3_T4_SL_T5_,"axG",@progbits,_ZN7rocprim17ROCPRIM_304000_NS6detail33device_block_merge_oddeven_kernelINS1_37wrapped_merge_sort_block_merge_configINS0_14default_configEiN2at4cuda3cub6detail10OpaqueTypeILi1EEEEEPiSC_PSA_SD_jNS1_19radix_merge_compareILb0ELb0EiNS0_19identity_decomposerEEEEEvT0_T1_T2_T3_T4_SL_T5_,comdat
	.protected	_ZN7rocprim17ROCPRIM_304000_NS6detail33device_block_merge_oddeven_kernelINS1_37wrapped_merge_sort_block_merge_configINS0_14default_configEiN2at4cuda3cub6detail10OpaqueTypeILi1EEEEEPiSC_PSA_SD_jNS1_19radix_merge_compareILb0ELb0EiNS0_19identity_decomposerEEEEEvT0_T1_T2_T3_T4_SL_T5_ ; -- Begin function _ZN7rocprim17ROCPRIM_304000_NS6detail33device_block_merge_oddeven_kernelINS1_37wrapped_merge_sort_block_merge_configINS0_14default_configEiN2at4cuda3cub6detail10OpaqueTypeILi1EEEEEPiSC_PSA_SD_jNS1_19radix_merge_compareILb0ELb0EiNS0_19identity_decomposerEEEEEvT0_T1_T2_T3_T4_SL_T5_
	.globl	_ZN7rocprim17ROCPRIM_304000_NS6detail33device_block_merge_oddeven_kernelINS1_37wrapped_merge_sort_block_merge_configINS0_14default_configEiN2at4cuda3cub6detail10OpaqueTypeILi1EEEEEPiSC_PSA_SD_jNS1_19radix_merge_compareILb0ELb0EiNS0_19identity_decomposerEEEEEvT0_T1_T2_T3_T4_SL_T5_
	.p2align	8
	.type	_ZN7rocprim17ROCPRIM_304000_NS6detail33device_block_merge_oddeven_kernelINS1_37wrapped_merge_sort_block_merge_configINS0_14default_configEiN2at4cuda3cub6detail10OpaqueTypeILi1EEEEEPiSC_PSA_SD_jNS1_19radix_merge_compareILb0ELb0EiNS0_19identity_decomposerEEEEEvT0_T1_T2_T3_T4_SL_T5_,@function
_ZN7rocprim17ROCPRIM_304000_NS6detail33device_block_merge_oddeven_kernelINS1_37wrapped_merge_sort_block_merge_configINS0_14default_configEiN2at4cuda3cub6detail10OpaqueTypeILi1EEEEEPiSC_PSA_SD_jNS1_19radix_merge_compareILb0ELb0EiNS0_19identity_decomposerEEEEEvT0_T1_T2_T3_T4_SL_T5_: ; @_ZN7rocprim17ROCPRIM_304000_NS6detail33device_block_merge_oddeven_kernelINS1_37wrapped_merge_sort_block_merge_configINS0_14default_configEiN2at4cuda3cub6detail10OpaqueTypeILi1EEEEEPiSC_PSA_SD_jNS1_19radix_merge_compareILb0ELb0EiNS0_19identity_decomposerEEEEEvT0_T1_T2_T3_T4_SL_T5_
; %bb.0:
	s_load_b64 s[16:17], s[0:1], 0x20
	s_waitcnt lgkmcnt(0)
	s_lshr_b32 s2, s16, 8
	s_delay_alu instid0(SALU_CYCLE_1) | instskip(SKIP_4) | instid1(SALU_CYCLE_1)
	s_cmp_lg_u32 s15, s2
	s_cselect_b32 s4, -1, 0
	s_cmp_eq_u32 s15, s2
	s_cselect_b32 s3, -1, 0
	s_lshl_b32 s12, s15, 8
	s_sub_i32 s2, s16, s12
	s_delay_alu instid0(SALU_CYCLE_1) | instskip(NEXT) | instid1(VALU_DEP_1)
	v_cmp_gt_u32_e64 s2, s2, v0
	s_or_b32 s4, s4, s2
	s_delay_alu instid0(SALU_CYCLE_1)
	s_and_saveexec_b32 s5, s4
	s_cbranch_execz .LBB19_26
; %bb.1:
	s_load_b256 s[4:11], s[0:1], 0x0
	s_mov_b32 s13, 0
	v_lshlrev_b32_e32 v1, 2, v0
	s_lshl_b64 s[0:1], s[12:13], 2
	v_add_nc_u32_e32 v2, s12, v0
	s_waitcnt lgkmcnt(0)
	s_add_u32 s0, s4, s0
	s_addc_u32 s1, s5, s1
	s_add_u32 s8, s8, s12
	s_addc_u32 s9, s9, 0
	global_load_u8 v4, v0, s[8:9]
	global_load_b32 v5, v1, s[0:1]
	s_lshr_b32 s0, s17, 8
	s_delay_alu instid0(SALU_CYCLE_1) | instskip(NEXT) | instid1(SALU_CYCLE_1)
	s_sub_i32 s1, 0, s0
	s_and_b32 s1, s15, s1
	s_delay_alu instid0(SALU_CYCLE_1) | instskip(SKIP_4) | instid1(SALU_CYCLE_1)
	s_and_b32 s0, s1, s0
	s_lshl_b32 s9, s1, 8
	s_sub_i32 s1, 0, s17
	s_cmp_eq_u32 s0, 0
	s_cselect_b32 s0, -1, 0
	s_and_b32 s8, s0, exec_lo
	s_cselect_b32 s1, s17, s1
	s_delay_alu instid0(SALU_CYCLE_1) | instskip(NEXT) | instid1(SALU_CYCLE_1)
	s_add_i32 s1, s1, s9
	s_cmp_lt_u32 s1, s16
	s_cbranch_scc1 .LBB19_6
; %bb.2:
	s_and_b32 vcc_lo, exec_lo, s3
	s_cbranch_vccz .LBB19_7
; %bb.3:
	s_mov_b32 s8, 0
	s_mov_b32 s12, exec_lo
                                        ; implicit-def: $vgpr0_vgpr1
	v_cmpx_gt_u32_e64 s16, v2
	s_cbranch_execz .LBB19_5
; %bb.4:
	v_mov_b32_e32 v3, 0
	s_mov_b32 s13, exec_lo
	s_delay_alu instid0(VALU_DEP_1) | instskip(NEXT) | instid1(VALU_DEP_1)
	v_lshlrev_b64 v[0:1], 2, v[2:3]
	v_add_co_u32 v6, vcc_lo, s6, v0
	v_add_co_u32 v0, s14, s10, v2
	s_delay_alu instid0(VALU_DEP_3)
	v_add_co_ci_u32_e32 v7, vcc_lo, s7, v1, vcc_lo
	v_add_co_ci_u32_e64 v1, null, s11, 0, s14
	s_waitcnt vmcnt(0)
	global_store_b32 v[6:7], v5, off
.LBB19_5:
	s_or_b32 exec_lo, exec_lo, s12
	s_delay_alu instid0(SALU_CYCLE_1)
	s_and_b32 vcc_lo, exec_lo, s8
	s_cbranch_vccnz .LBB19_8
	s_branch .LBB19_9
.LBB19_6:
                                        ; implicit-def: $vgpr0_vgpr1
	s_cbranch_execnz .LBB19_10
	s_branch .LBB19_24
.LBB19_7:
                                        ; implicit-def: $vgpr0_vgpr1
	s_cbranch_execz .LBB19_9
.LBB19_8:
	v_mov_b32_e32 v3, 0
	s_or_b32 s13, s13, exec_lo
	s_delay_alu instid0(VALU_DEP_1) | instskip(NEXT) | instid1(VALU_DEP_1)
	v_lshlrev_b64 v[0:1], 2, v[2:3]
	v_add_co_u32 v6, vcc_lo, s6, v0
	v_add_co_u32 v0, s8, s10, v2
	s_delay_alu instid0(VALU_DEP_3)
	v_add_co_ci_u32_e32 v7, vcc_lo, s7, v1, vcc_lo
	v_add_co_ci_u32_e64 v1, null, s11, 0, s8
	s_waitcnt vmcnt(0)
	global_store_b32 v[6:7], v5, off
.LBB19_9:
	s_branch .LBB19_24
.LBB19_10:
	s_min_u32 s8, s1, s16
	s_and_b32 vcc_lo, exec_lo, s3
	s_add_i32 s12, s9, s8
	s_min_u32 s9, s9, s8
	v_subrev_nc_u32_e32 v0, s12, v2
	s_add_i32 s12, s8, s17
	s_delay_alu instid0(SALU_CYCLE_1) | instskip(NEXT) | instid1(VALU_DEP_1)
	s_min_u32 s3, s12, s16
	v_add_nc_u32_e32 v2, s9, v0
	s_cbranch_vccz .LBB19_18
; %bb.11:
                                        ; implicit-def: $vgpr0_vgpr1
	s_and_saveexec_b32 s9, s2
	s_cbranch_execz .LBB19_17
; %bb.12:
	v_mov_b32_e32 v3, s8
	s_cmp_ge_u32 s1, s3
	s_cbranch_scc1 .LBB19_16
; %bb.13:
	v_dual_mov_b32 v6, s3 :: v_dual_mov_b32 v3, s8
	v_mov_b32_e32 v1, 0
	s_mov_b32 s2, 0
	.p2align	6
.LBB19_14:                              ; =>This Inner Loop Header: Depth=1
	s_delay_alu instid0(VALU_DEP_2) | instskip(NEXT) | instid1(VALU_DEP_1)
	v_add_nc_u32_e32 v0, v3, v6
	v_lshrrev_b32_e32 v0, 1, v0
	s_delay_alu instid0(VALU_DEP_1) | instskip(NEXT) | instid1(VALU_DEP_1)
	v_lshlrev_b64 v[7:8], 2, v[0:1]
	v_add_co_u32 v7, vcc_lo, s4, v7
	s_delay_alu instid0(VALU_DEP_2)
	v_add_co_ci_u32_e32 v8, vcc_lo, s5, v8, vcc_lo
	global_load_b32 v7, v[7:8], off
	s_waitcnt vmcnt(0)
	v_cmp_gt_i32_e32 vcc_lo, v5, v7
	v_cndmask_b32_e64 v8, 0, 1, vcc_lo
	v_cmp_le_i32_e32 vcc_lo, v7, v5
	v_cndmask_b32_e64 v7, 0, 1, vcc_lo
	s_delay_alu instid0(VALU_DEP_1) | instskip(SKIP_1) | instid1(VALU_DEP_2)
	v_cndmask_b32_e64 v7, v7, v8, s0
	v_add_nc_u32_e32 v8, 1, v0
	v_and_b32_e32 v7, 1, v7
	s_delay_alu instid0(VALU_DEP_1) | instskip(NEXT) | instid1(VALU_DEP_3)
	v_cmp_eq_u32_e32 vcc_lo, 1, v7
	v_dual_cndmask_b32 v6, v0, v6 :: v_dual_cndmask_b32 v3, v3, v8
	s_delay_alu instid0(VALU_DEP_1) | instskip(SKIP_1) | instid1(SALU_CYCLE_1)
	v_cmp_ge_u32_e32 vcc_lo, v3, v6
	s_or_b32 s2, vcc_lo, s2
	s_and_not1_b32 exec_lo, exec_lo, s2
	s_cbranch_execnz .LBB19_14
; %bb.15:
	s_or_b32 exec_lo, exec_lo, s2
.LBB19_16:
	s_delay_alu instid0(VALU_DEP_1) | instskip(SKIP_1) | instid1(VALU_DEP_1)
	v_dual_mov_b32 v1, 0 :: v_dual_add_nc_u32 v0, v3, v2
	s_or_b32 s13, s13, exec_lo
	v_lshlrev_b64 v[6:7], 2, v[0:1]
	v_add_co_u32 v0, s2, s10, v0
	s_delay_alu instid0(VALU_DEP_1) | instskip(NEXT) | instid1(VALU_DEP_3)
	v_add_co_ci_u32_e64 v1, null, s11, 0, s2
	v_add_co_u32 v6, vcc_lo, s6, v6
	s_delay_alu instid0(VALU_DEP_4)
	v_add_co_ci_u32_e32 v7, vcc_lo, s7, v7, vcc_lo
	s_waitcnt vmcnt(0)
	global_store_b32 v[6:7], v5, off
.LBB19_17:
	s_or_b32 exec_lo, exec_lo, s9
	s_branch .LBB19_24
.LBB19_18:
                                        ; implicit-def: $vgpr0_vgpr1
	s_cbranch_execz .LBB19_24
; %bb.19:
	v_mov_b32_e32 v3, s8
	s_cmp_ge_u32 s1, s3
	s_cbranch_scc1 .LBB19_23
; %bb.20:
	v_dual_mov_b32 v6, s3 :: v_dual_mov_b32 v3, s8
	v_mov_b32_e32 v1, 0
	s_mov_b32 s1, 0
	.p2align	6
.LBB19_21:                              ; =>This Inner Loop Header: Depth=1
	s_delay_alu instid0(VALU_DEP_2) | instskip(NEXT) | instid1(VALU_DEP_1)
	v_add_nc_u32_e32 v0, v3, v6
	v_lshrrev_b32_e32 v0, 1, v0
	s_delay_alu instid0(VALU_DEP_1) | instskip(NEXT) | instid1(VALU_DEP_1)
	v_lshlrev_b64 v[7:8], 2, v[0:1]
	v_add_co_u32 v7, vcc_lo, s4, v7
	s_delay_alu instid0(VALU_DEP_2)
	v_add_co_ci_u32_e32 v8, vcc_lo, s5, v8, vcc_lo
	global_load_b32 v7, v[7:8], off
	s_waitcnt vmcnt(0)
	v_cmp_gt_i32_e32 vcc_lo, v5, v7
	v_cndmask_b32_e64 v8, 0, 1, vcc_lo
	v_cmp_le_i32_e32 vcc_lo, v7, v5
	v_cndmask_b32_e64 v7, 0, 1, vcc_lo
	s_delay_alu instid0(VALU_DEP_1) | instskip(SKIP_1) | instid1(VALU_DEP_2)
	v_cndmask_b32_e64 v7, v7, v8, s0
	v_add_nc_u32_e32 v8, 1, v0
	v_and_b32_e32 v7, 1, v7
	s_delay_alu instid0(VALU_DEP_1) | instskip(NEXT) | instid1(VALU_DEP_3)
	v_cmp_eq_u32_e32 vcc_lo, 1, v7
	v_dual_cndmask_b32 v6, v0, v6 :: v_dual_cndmask_b32 v3, v3, v8
	s_delay_alu instid0(VALU_DEP_1) | instskip(SKIP_1) | instid1(SALU_CYCLE_1)
	v_cmp_ge_u32_e32 vcc_lo, v3, v6
	s_or_b32 s1, vcc_lo, s1
	s_and_not1_b32 exec_lo, exec_lo, s1
	s_cbranch_execnz .LBB19_21
; %bb.22:
	s_or_b32 exec_lo, exec_lo, s1
.LBB19_23:
	s_delay_alu instid0(VALU_DEP_1) | instskip(SKIP_1) | instid1(VALU_DEP_1)
	v_dual_mov_b32 v1, 0 :: v_dual_add_nc_u32 v0, v3, v2
	s_mov_b32 s13, -1
	v_lshlrev_b64 v[1:2], 2, v[0:1]
	v_add_co_u32 v0, s0, s10, v0
	s_delay_alu instid0(VALU_DEP_2) | instskip(NEXT) | instid1(VALU_DEP_3)
	v_add_co_u32 v6, vcc_lo, s6, v1
	v_add_co_ci_u32_e32 v7, vcc_lo, s7, v2, vcc_lo
	v_add_co_ci_u32_e64 v1, null, s11, 0, s0
	s_waitcnt vmcnt(0)
	global_store_b32 v[6:7], v5, off
.LBB19_24:
	s_and_b32 exec_lo, exec_lo, s13
	s_cbranch_execz .LBB19_26
; %bb.25:
	s_waitcnt vmcnt(1)
	global_store_b8 v[0:1], v4, off
.LBB19_26:
	s_nop 0
	s_sendmsg sendmsg(MSG_DEALLOC_VGPRS)
	s_endpgm
	.section	.rodata,"a",@progbits
	.p2align	6, 0x0
	.amdhsa_kernel _ZN7rocprim17ROCPRIM_304000_NS6detail33device_block_merge_oddeven_kernelINS1_37wrapped_merge_sort_block_merge_configINS0_14default_configEiN2at4cuda3cub6detail10OpaqueTypeILi1EEEEEPiSC_PSA_SD_jNS1_19radix_merge_compareILb0ELb0EiNS0_19identity_decomposerEEEEEvT0_T1_T2_T3_T4_SL_T5_
		.amdhsa_group_segment_fixed_size 0
		.amdhsa_private_segment_fixed_size 0
		.amdhsa_kernarg_size 44
		.amdhsa_user_sgpr_count 15
		.amdhsa_user_sgpr_dispatch_ptr 0
		.amdhsa_user_sgpr_queue_ptr 0
		.amdhsa_user_sgpr_kernarg_segment_ptr 1
		.amdhsa_user_sgpr_dispatch_id 0
		.amdhsa_user_sgpr_private_segment_size 0
		.amdhsa_wavefront_size32 1
		.amdhsa_uses_dynamic_stack 0
		.amdhsa_enable_private_segment 0
		.amdhsa_system_sgpr_workgroup_id_x 1
		.amdhsa_system_sgpr_workgroup_id_y 0
		.amdhsa_system_sgpr_workgroup_id_z 0
		.amdhsa_system_sgpr_workgroup_info 0
		.amdhsa_system_vgpr_workitem_id 0
		.amdhsa_next_free_vgpr 9
		.amdhsa_next_free_sgpr 18
		.amdhsa_reserve_vcc 1
		.amdhsa_float_round_mode_32 0
		.amdhsa_float_round_mode_16_64 0
		.amdhsa_float_denorm_mode_32 3
		.amdhsa_float_denorm_mode_16_64 3
		.amdhsa_dx10_clamp 1
		.amdhsa_ieee_mode 1
		.amdhsa_fp16_overflow 0
		.amdhsa_workgroup_processor_mode 1
		.amdhsa_memory_ordered 1
		.amdhsa_forward_progress 0
		.amdhsa_shared_vgpr_count 0
		.amdhsa_exception_fp_ieee_invalid_op 0
		.amdhsa_exception_fp_denorm_src 0
		.amdhsa_exception_fp_ieee_div_zero 0
		.amdhsa_exception_fp_ieee_overflow 0
		.amdhsa_exception_fp_ieee_underflow 0
		.amdhsa_exception_fp_ieee_inexact 0
		.amdhsa_exception_int_div_zero 0
	.end_amdhsa_kernel
	.section	.text._ZN7rocprim17ROCPRIM_304000_NS6detail33device_block_merge_oddeven_kernelINS1_37wrapped_merge_sort_block_merge_configINS0_14default_configEiN2at4cuda3cub6detail10OpaqueTypeILi1EEEEEPiSC_PSA_SD_jNS1_19radix_merge_compareILb0ELb0EiNS0_19identity_decomposerEEEEEvT0_T1_T2_T3_T4_SL_T5_,"axG",@progbits,_ZN7rocprim17ROCPRIM_304000_NS6detail33device_block_merge_oddeven_kernelINS1_37wrapped_merge_sort_block_merge_configINS0_14default_configEiN2at4cuda3cub6detail10OpaqueTypeILi1EEEEEPiSC_PSA_SD_jNS1_19radix_merge_compareILb0ELb0EiNS0_19identity_decomposerEEEEEvT0_T1_T2_T3_T4_SL_T5_,comdat
.Lfunc_end19:
	.size	_ZN7rocprim17ROCPRIM_304000_NS6detail33device_block_merge_oddeven_kernelINS1_37wrapped_merge_sort_block_merge_configINS0_14default_configEiN2at4cuda3cub6detail10OpaqueTypeILi1EEEEEPiSC_PSA_SD_jNS1_19radix_merge_compareILb0ELb0EiNS0_19identity_decomposerEEEEEvT0_T1_T2_T3_T4_SL_T5_, .Lfunc_end19-_ZN7rocprim17ROCPRIM_304000_NS6detail33device_block_merge_oddeven_kernelINS1_37wrapped_merge_sort_block_merge_configINS0_14default_configEiN2at4cuda3cub6detail10OpaqueTypeILi1EEEEEPiSC_PSA_SD_jNS1_19radix_merge_compareILb0ELb0EiNS0_19identity_decomposerEEEEEvT0_T1_T2_T3_T4_SL_T5_
                                        ; -- End function
	.section	.AMDGPU.csdata,"",@progbits
; Kernel info:
; codeLenInByte = 948
; NumSgprs: 20
; NumVgprs: 9
; ScratchSize: 0
; MemoryBound: 0
; FloatMode: 240
; IeeeMode: 1
; LDSByteSize: 0 bytes/workgroup (compile time only)
; SGPRBlocks: 2
; VGPRBlocks: 1
; NumSGPRsForWavesPerEU: 20
; NumVGPRsForWavesPerEU: 9
; Occupancy: 16
; WaveLimiterHint : 0
; COMPUTE_PGM_RSRC2:SCRATCH_EN: 0
; COMPUTE_PGM_RSRC2:USER_SGPR: 15
; COMPUTE_PGM_RSRC2:TRAP_HANDLER: 0
; COMPUTE_PGM_RSRC2:TGID_X_EN: 1
; COMPUTE_PGM_RSRC2:TGID_Y_EN: 0
; COMPUTE_PGM_RSRC2:TGID_Z_EN: 0
; COMPUTE_PGM_RSRC2:TIDIG_COMP_CNT: 0
	.section	.text._ZN7rocprim17ROCPRIM_304000_NS6detail45device_block_merge_mergepath_partition_kernelINS1_37wrapped_merge_sort_block_merge_configINS0_14default_configEiN2at4cuda3cub6detail10OpaqueTypeILi1EEEEEPijNS1_19radix_merge_compareILb0ELb1EiNS0_19identity_decomposerEEEEEvT0_T1_jPSH_T2_SH_,"axG",@progbits,_ZN7rocprim17ROCPRIM_304000_NS6detail45device_block_merge_mergepath_partition_kernelINS1_37wrapped_merge_sort_block_merge_configINS0_14default_configEiN2at4cuda3cub6detail10OpaqueTypeILi1EEEEEPijNS1_19radix_merge_compareILb0ELb1EiNS0_19identity_decomposerEEEEEvT0_T1_jPSH_T2_SH_,comdat
	.protected	_ZN7rocprim17ROCPRIM_304000_NS6detail45device_block_merge_mergepath_partition_kernelINS1_37wrapped_merge_sort_block_merge_configINS0_14default_configEiN2at4cuda3cub6detail10OpaqueTypeILi1EEEEEPijNS1_19radix_merge_compareILb0ELb1EiNS0_19identity_decomposerEEEEEvT0_T1_jPSH_T2_SH_ ; -- Begin function _ZN7rocprim17ROCPRIM_304000_NS6detail45device_block_merge_mergepath_partition_kernelINS1_37wrapped_merge_sort_block_merge_configINS0_14default_configEiN2at4cuda3cub6detail10OpaqueTypeILi1EEEEEPijNS1_19radix_merge_compareILb0ELb1EiNS0_19identity_decomposerEEEEEvT0_T1_jPSH_T2_SH_
	.globl	_ZN7rocprim17ROCPRIM_304000_NS6detail45device_block_merge_mergepath_partition_kernelINS1_37wrapped_merge_sort_block_merge_configINS0_14default_configEiN2at4cuda3cub6detail10OpaqueTypeILi1EEEEEPijNS1_19radix_merge_compareILb0ELb1EiNS0_19identity_decomposerEEEEEvT0_T1_jPSH_T2_SH_
	.p2align	8
	.type	_ZN7rocprim17ROCPRIM_304000_NS6detail45device_block_merge_mergepath_partition_kernelINS1_37wrapped_merge_sort_block_merge_configINS0_14default_configEiN2at4cuda3cub6detail10OpaqueTypeILi1EEEEEPijNS1_19radix_merge_compareILb0ELb1EiNS0_19identity_decomposerEEEEEvT0_T1_jPSH_T2_SH_,@function
_ZN7rocprim17ROCPRIM_304000_NS6detail45device_block_merge_mergepath_partition_kernelINS1_37wrapped_merge_sort_block_merge_configINS0_14default_configEiN2at4cuda3cub6detail10OpaqueTypeILi1EEEEEPijNS1_19radix_merge_compareILb0ELb1EiNS0_19identity_decomposerEEEEEvT0_T1_jPSH_T2_SH_: ; @_ZN7rocprim17ROCPRIM_304000_NS6detail45device_block_merge_mergepath_partition_kernelINS1_37wrapped_merge_sort_block_merge_configINS0_14default_configEiN2at4cuda3cub6detail10OpaqueTypeILi1EEEEEPijNS1_19radix_merge_compareILb0ELb1EiNS0_19identity_decomposerEEEEEvT0_T1_jPSH_T2_SH_
; %bb.0:
	s_load_b64 s[4:5], s[0:1], 0x8
	v_lshl_or_b32 v0, s15, 7, v0
	s_mov_b32 s2, exec_lo
	s_waitcnt lgkmcnt(0)
	s_delay_alu instid0(VALU_DEP_1)
	v_cmpx_gt_u32_e64 s5, v0
	s_cbranch_execz .LBB20_6
; %bb.1:
	s_load_b64 s[2:3], s[0:1], 0x18
	s_waitcnt lgkmcnt(0)
	s_lshr_b32 s5, s3, 9
	s_delay_alu instid0(SALU_CYCLE_1) | instskip(NEXT) | instid1(SALU_CYCLE_1)
	s_and_b32 s5, s5, 0x7ffffe
	s_sub_i32 s6, 0, s5
	s_add_i32 s5, s5, -1
	v_and_b32_e32 v1, s6, v0
	v_and_b32_e32 v5, s5, v0
	s_delay_alu instid0(VALU_DEP_2) | instskip(NEXT) | instid1(VALU_DEP_1)
	v_lshlrev_b32_e32 v1, 10, v1
	v_add_nc_u32_e32 v2, s3, v1
	s_delay_alu instid0(VALU_DEP_1) | instskip(SKIP_1) | instid1(VALU_DEP_2)
	v_min_u32_e32 v4, s4, v2
	v_min_u32_e32 v2, s4, v1
	v_add_nc_u32_e32 v3, s3, v4
	s_mov_b32 s3, exec_lo
	s_delay_alu instid0(VALU_DEP_1) | instskip(SKIP_1) | instid1(VALU_DEP_2)
	v_min_u32_e32 v1, s4, v3
	v_lshlrev_b32_e32 v3, 10, v5
	v_sub_nc_u32_e32 v5, v1, v2
	v_sub_nc_u32_e32 v6, v1, v4
	s_delay_alu instid0(VALU_DEP_2) | instskip(SKIP_1) | instid1(VALU_DEP_2)
	v_min_u32_e32 v1, v5, v3
	v_sub_nc_u32_e32 v3, v4, v2
	v_sub_nc_u32_e64 v6, v1, v6 clamp
	s_delay_alu instid0(VALU_DEP_2) | instskip(NEXT) | instid1(VALU_DEP_1)
	v_min_u32_e32 v7, v1, v3
	v_cmpx_lt_u32_e64 v6, v7
	s_cbranch_execz .LBB20_5
; %bb.2:
	s_load_b64 s[4:5], s[0:1], 0x0
	v_mov_b32_e32 v5, 0
	s_delay_alu instid0(VALU_DEP_1) | instskip(SKIP_1) | instid1(VALU_DEP_2)
	v_mov_b32_e32 v3, v5
	v_lshlrev_b64 v[10:11], 2, v[4:5]
	v_lshlrev_b64 v[8:9], 2, v[2:3]
	s_waitcnt lgkmcnt(0)
	s_delay_alu instid0(VALU_DEP_1) | instskip(NEXT) | instid1(VALU_DEP_2)
	v_add_co_u32 v3, vcc_lo, s4, v8
	v_add_co_ci_u32_e32 v8, vcc_lo, s5, v9, vcc_lo
	s_delay_alu instid0(VALU_DEP_4)
	v_add_co_u32 v9, vcc_lo, s4, v10
	v_add_co_ci_u32_e32 v10, vcc_lo, s5, v11, vcc_lo
	s_mov_b32 s4, 0
	.p2align	6
.LBB20_3:                               ; =>This Inner Loop Header: Depth=1
	v_add_nc_u32_e32 v4, v7, v6
	v_mov_b32_e32 v12, v5
	s_delay_alu instid0(VALU_DEP_2) | instskip(NEXT) | instid1(VALU_DEP_1)
	v_lshrrev_b32_e32 v4, 1, v4
	v_xad_u32 v11, v4, -1, v1
	v_lshlrev_b64 v[13:14], 2, v[4:5]
	s_delay_alu instid0(VALU_DEP_2) | instskip(NEXT) | instid1(VALU_DEP_2)
	v_lshlrev_b64 v[11:12], 2, v[11:12]
	v_add_co_u32 v13, vcc_lo, v3, v13
	s_delay_alu instid0(VALU_DEP_3) | instskip(NEXT) | instid1(VALU_DEP_3)
	v_add_co_ci_u32_e32 v14, vcc_lo, v8, v14, vcc_lo
	v_add_co_u32 v11, vcc_lo, v9, v11
	s_delay_alu instid0(VALU_DEP_4)
	v_add_co_ci_u32_e32 v12, vcc_lo, v10, v12, vcc_lo
	s_clause 0x1
	global_load_b32 v13, v[13:14], off
	global_load_b32 v11, v[11:12], off
	s_waitcnt vmcnt(1)
	v_and_b32_e32 v12, s2, v13
	s_waitcnt vmcnt(0)
	v_and_b32_e32 v11, s2, v11
	v_add_nc_u32_e32 v13, 1, v4
	s_delay_alu instid0(VALU_DEP_2) | instskip(NEXT) | instid1(VALU_DEP_2)
	v_cmp_gt_i32_e32 vcc_lo, v12, v11
	v_dual_cndmask_b32 v7, v7, v4 :: v_dual_cndmask_b32 v6, v13, v6
	s_delay_alu instid0(VALU_DEP_1) | instskip(SKIP_1) | instid1(SALU_CYCLE_1)
	v_cmp_ge_u32_e32 vcc_lo, v6, v7
	s_or_b32 s4, vcc_lo, s4
	s_and_not1_b32 exec_lo, exec_lo, s4
	s_cbranch_execnz .LBB20_3
; %bb.4:
	s_or_b32 exec_lo, exec_lo, s4
.LBB20_5:
	s_delay_alu instid0(SALU_CYCLE_1) | instskip(SKIP_2) | instid1(VALU_DEP_1)
	s_or_b32 exec_lo, exec_lo, s3
	s_load_b64 s[0:1], s[0:1], 0x10
	v_dual_mov_b32 v1, 0 :: v_dual_add_nc_u32 v2, v6, v2
	v_lshlrev_b64 v[0:1], 2, v[0:1]
	s_waitcnt lgkmcnt(0)
	s_delay_alu instid0(VALU_DEP_1) | instskip(NEXT) | instid1(VALU_DEP_2)
	v_add_co_u32 v0, vcc_lo, s0, v0
	v_add_co_ci_u32_e32 v1, vcc_lo, s1, v1, vcc_lo
	global_store_b32 v[0:1], v2, off
.LBB20_6:
	s_nop 0
	s_sendmsg sendmsg(MSG_DEALLOC_VGPRS)
	s_endpgm
	.section	.rodata,"a",@progbits
	.p2align	6, 0x0
	.amdhsa_kernel _ZN7rocprim17ROCPRIM_304000_NS6detail45device_block_merge_mergepath_partition_kernelINS1_37wrapped_merge_sort_block_merge_configINS0_14default_configEiN2at4cuda3cub6detail10OpaqueTypeILi1EEEEEPijNS1_19radix_merge_compareILb0ELb1EiNS0_19identity_decomposerEEEEEvT0_T1_jPSH_T2_SH_
		.amdhsa_group_segment_fixed_size 0
		.amdhsa_private_segment_fixed_size 0
		.amdhsa_kernarg_size 32
		.amdhsa_user_sgpr_count 15
		.amdhsa_user_sgpr_dispatch_ptr 0
		.amdhsa_user_sgpr_queue_ptr 0
		.amdhsa_user_sgpr_kernarg_segment_ptr 1
		.amdhsa_user_sgpr_dispatch_id 0
		.amdhsa_user_sgpr_private_segment_size 0
		.amdhsa_wavefront_size32 1
		.amdhsa_uses_dynamic_stack 0
		.amdhsa_enable_private_segment 0
		.amdhsa_system_sgpr_workgroup_id_x 1
		.amdhsa_system_sgpr_workgroup_id_y 0
		.amdhsa_system_sgpr_workgroup_id_z 0
		.amdhsa_system_sgpr_workgroup_info 0
		.amdhsa_system_vgpr_workitem_id 0
		.amdhsa_next_free_vgpr 15
		.amdhsa_next_free_sgpr 16
		.amdhsa_reserve_vcc 1
		.amdhsa_float_round_mode_32 0
		.amdhsa_float_round_mode_16_64 0
		.amdhsa_float_denorm_mode_32 3
		.amdhsa_float_denorm_mode_16_64 3
		.amdhsa_dx10_clamp 1
		.amdhsa_ieee_mode 1
		.amdhsa_fp16_overflow 0
		.amdhsa_workgroup_processor_mode 1
		.amdhsa_memory_ordered 1
		.amdhsa_forward_progress 0
		.amdhsa_shared_vgpr_count 0
		.amdhsa_exception_fp_ieee_invalid_op 0
		.amdhsa_exception_fp_denorm_src 0
		.amdhsa_exception_fp_ieee_div_zero 0
		.amdhsa_exception_fp_ieee_overflow 0
		.amdhsa_exception_fp_ieee_underflow 0
		.amdhsa_exception_fp_ieee_inexact 0
		.amdhsa_exception_int_div_zero 0
	.end_amdhsa_kernel
	.section	.text._ZN7rocprim17ROCPRIM_304000_NS6detail45device_block_merge_mergepath_partition_kernelINS1_37wrapped_merge_sort_block_merge_configINS0_14default_configEiN2at4cuda3cub6detail10OpaqueTypeILi1EEEEEPijNS1_19radix_merge_compareILb0ELb1EiNS0_19identity_decomposerEEEEEvT0_T1_jPSH_T2_SH_,"axG",@progbits,_ZN7rocprim17ROCPRIM_304000_NS6detail45device_block_merge_mergepath_partition_kernelINS1_37wrapped_merge_sort_block_merge_configINS0_14default_configEiN2at4cuda3cub6detail10OpaqueTypeILi1EEEEEPijNS1_19radix_merge_compareILb0ELb1EiNS0_19identity_decomposerEEEEEvT0_T1_jPSH_T2_SH_,comdat
.Lfunc_end20:
	.size	_ZN7rocprim17ROCPRIM_304000_NS6detail45device_block_merge_mergepath_partition_kernelINS1_37wrapped_merge_sort_block_merge_configINS0_14default_configEiN2at4cuda3cub6detail10OpaqueTypeILi1EEEEEPijNS1_19radix_merge_compareILb0ELb1EiNS0_19identity_decomposerEEEEEvT0_T1_jPSH_T2_SH_, .Lfunc_end20-_ZN7rocprim17ROCPRIM_304000_NS6detail45device_block_merge_mergepath_partition_kernelINS1_37wrapped_merge_sort_block_merge_configINS0_14default_configEiN2at4cuda3cub6detail10OpaqueTypeILi1EEEEEPijNS1_19radix_merge_compareILb0ELb1EiNS0_19identity_decomposerEEEEEvT0_T1_jPSH_T2_SH_
                                        ; -- End function
	.section	.AMDGPU.csdata,"",@progbits
; Kernel info:
; codeLenInByte = 480
; NumSgprs: 18
; NumVgprs: 15
; ScratchSize: 0
; MemoryBound: 0
; FloatMode: 240
; IeeeMode: 1
; LDSByteSize: 0 bytes/workgroup (compile time only)
; SGPRBlocks: 2
; VGPRBlocks: 1
; NumSGPRsForWavesPerEU: 18
; NumVGPRsForWavesPerEU: 15
; Occupancy: 16
; WaveLimiterHint : 0
; COMPUTE_PGM_RSRC2:SCRATCH_EN: 0
; COMPUTE_PGM_RSRC2:USER_SGPR: 15
; COMPUTE_PGM_RSRC2:TRAP_HANDLER: 0
; COMPUTE_PGM_RSRC2:TGID_X_EN: 1
; COMPUTE_PGM_RSRC2:TGID_Y_EN: 0
; COMPUTE_PGM_RSRC2:TGID_Z_EN: 0
; COMPUTE_PGM_RSRC2:TIDIG_COMP_CNT: 0
	.section	.text._ZN7rocprim17ROCPRIM_304000_NS6detail35device_block_merge_mergepath_kernelINS1_37wrapped_merge_sort_block_merge_configINS0_14default_configEiN2at4cuda3cub6detail10OpaqueTypeILi1EEEEEPiSC_PSA_SD_jNS1_19radix_merge_compareILb0ELb1EiNS0_19identity_decomposerEEEEEvT0_T1_T2_T3_T4_SL_jT5_PKSL_NS1_7vsmem_tE,"axG",@progbits,_ZN7rocprim17ROCPRIM_304000_NS6detail35device_block_merge_mergepath_kernelINS1_37wrapped_merge_sort_block_merge_configINS0_14default_configEiN2at4cuda3cub6detail10OpaqueTypeILi1EEEEEPiSC_PSA_SD_jNS1_19radix_merge_compareILb0ELb1EiNS0_19identity_decomposerEEEEEvT0_T1_T2_T3_T4_SL_jT5_PKSL_NS1_7vsmem_tE,comdat
	.protected	_ZN7rocprim17ROCPRIM_304000_NS6detail35device_block_merge_mergepath_kernelINS1_37wrapped_merge_sort_block_merge_configINS0_14default_configEiN2at4cuda3cub6detail10OpaqueTypeILi1EEEEEPiSC_PSA_SD_jNS1_19radix_merge_compareILb0ELb1EiNS0_19identity_decomposerEEEEEvT0_T1_T2_T3_T4_SL_jT5_PKSL_NS1_7vsmem_tE ; -- Begin function _ZN7rocprim17ROCPRIM_304000_NS6detail35device_block_merge_mergepath_kernelINS1_37wrapped_merge_sort_block_merge_configINS0_14default_configEiN2at4cuda3cub6detail10OpaqueTypeILi1EEEEEPiSC_PSA_SD_jNS1_19radix_merge_compareILb0ELb1EiNS0_19identity_decomposerEEEEEvT0_T1_T2_T3_T4_SL_jT5_PKSL_NS1_7vsmem_tE
	.globl	_ZN7rocprim17ROCPRIM_304000_NS6detail35device_block_merge_mergepath_kernelINS1_37wrapped_merge_sort_block_merge_configINS0_14default_configEiN2at4cuda3cub6detail10OpaqueTypeILi1EEEEEPiSC_PSA_SD_jNS1_19radix_merge_compareILb0ELb1EiNS0_19identity_decomposerEEEEEvT0_T1_T2_T3_T4_SL_jT5_PKSL_NS1_7vsmem_tE
	.p2align	8
	.type	_ZN7rocprim17ROCPRIM_304000_NS6detail35device_block_merge_mergepath_kernelINS1_37wrapped_merge_sort_block_merge_configINS0_14default_configEiN2at4cuda3cub6detail10OpaqueTypeILi1EEEEEPiSC_PSA_SD_jNS1_19radix_merge_compareILb0ELb1EiNS0_19identity_decomposerEEEEEvT0_T1_T2_T3_T4_SL_jT5_PKSL_NS1_7vsmem_tE,@function
_ZN7rocprim17ROCPRIM_304000_NS6detail35device_block_merge_mergepath_kernelINS1_37wrapped_merge_sort_block_merge_configINS0_14default_configEiN2at4cuda3cub6detail10OpaqueTypeILi1EEEEEPiSC_PSA_SD_jNS1_19radix_merge_compareILb0ELb1EiNS0_19identity_decomposerEEEEEvT0_T1_T2_T3_T4_SL_jT5_PKSL_NS1_7vsmem_tE: ; @_ZN7rocprim17ROCPRIM_304000_NS6detail35device_block_merge_mergepath_kernelINS1_37wrapped_merge_sort_block_merge_configINS0_14default_configEiN2at4cuda3cub6detail10OpaqueTypeILi1EEEEEPiSC_PSA_SD_jNS1_19radix_merge_compareILb0ELb1EiNS0_19identity_decomposerEEEEEvT0_T1_T2_T3_T4_SL_jT5_PKSL_NS1_7vsmem_tE
; %bb.0:
	s_clause 0x1
	s_load_b64 s[24:25], s[0:1], 0x40
	s_load_b128 s[16:19], s[0:1], 0x20
	s_add_u32 s22, s0, 64
	s_addc_u32 s23, s1, 0
	s_waitcnt lgkmcnt(0)
	s_mul_i32 s2, s25, s15
	s_delay_alu instid0(SALU_CYCLE_1) | instskip(NEXT) | instid1(SALU_CYCLE_1)
	s_add_i32 s2, s2, s14
	s_mul_i32 s2, s2, s24
	s_delay_alu instid0(SALU_CYCLE_1) | instskip(NEXT) | instid1(SALU_CYCLE_1)
	s_add_i32 s2, s2, s13
	s_cmp_ge_u32 s2, s18
	s_cbranch_scc1 .LBB21_69
; %bb.1:
	s_load_b64 s[4:5], s[0:1], 0x30
	s_lshr_b32 s28, s16, 10
	s_mov_b32 s15, 0
	s_cmp_lg_u32 s2, s28
	s_mov_b32 s3, s15
	s_cselect_b32 s18, -1, 0
	s_lshl_b64 s[6:7], s[2:3], 2
	v_mov_b32_e32 v2, 0
	s_mov_b32 s21, s15
	v_lshlrev_b32_e32 v9, 2, v0
	s_waitcnt lgkmcnt(0)
	s_add_u32 s4, s4, s6
	s_addc_u32 s5, s5, s7
	s_lshl_b32 s12, s2, 10
	s_load_b64 s[26:27], s[4:5], 0x0
	s_load_b256 s[4:11], s[0:1], 0x0
	s_lshr_b32 s0, s17, 9
	global_load_b32 v1, v2, s[22:23] offset:14
	s_and_b32 s0, s0, 0x7ffffe
	s_delay_alu instid0(SALU_CYCLE_1) | instskip(NEXT) | instid1(SALU_CYCLE_1)
	s_sub_i32 s0, 0, s0
	s_and_b32 s1, s2, s0
	s_or_b32 s0, s2, s0
	s_lshl_b32 s3, s1, 11
	s_lshl_b32 s1, s1, 10
	s_add_i32 s3, s3, s17
	s_sub_i32 s14, s12, s1
	s_sub_i32 s1, s3, s1
	s_add_i32 s3, s3, s14
	s_min_u32 s25, s16, s1
	s_add_i32 s1, s1, s17
	s_waitcnt lgkmcnt(0)
	s_sub_i32 s14, s3, s26
	s_sub_i32 s3, s3, s27
	s_min_u32 s20, s16, s14
	s_addk_i32 s3, 0x400
	s_cmp_eq_u32 s0, -1
	s_mov_b32 s14, s26
	s_cselect_b32 s3, s1, s3
	s_cselect_b32 s17, s25, s27
	s_min_u32 s3, s3, s16
	s_lshl_b64 s[0:1], s[14:15], 2
	s_sub_i32 s17, s17, s26
	s_sub_i32 s25, s3, s20
	s_add_u32 s26, s4, s0
	s_addc_u32 s27, s5, s1
	s_lshl_b64 s[0:1], s[20:21], 2
	v_cmp_gt_u32_e32 vcc_lo, s17, v0
	s_add_u32 s3, s4, s0
	s_addc_u32 s4, s5, s1
	s_cmp_lt_u32 s13, s24
	s_cselect_b32 s0, 12, 18
	s_delay_alu instid0(SALU_CYCLE_1)
	s_add_u32 s0, s22, s0
	s_addc_u32 s1, s23, 0
	s_cmp_eq_u32 s2, s28
	global_load_u16 v3, v2, s[0:1]
	s_mov_b32 s0, -1
	s_waitcnt vmcnt(1)
	v_lshrrev_b32_e32 v4, 16, v1
	v_and_b32_e32 v1, 0xffff, v1
	s_delay_alu instid0(VALU_DEP_1) | instskip(SKIP_1) | instid1(VALU_DEP_1)
	v_mul_lo_u32 v1, v1, v4
	s_waitcnt vmcnt(0)
	v_mul_lo_u32 v10, v1, v3
	s_delay_alu instid0(VALU_DEP_1) | instskip(NEXT) | instid1(VALU_DEP_1)
	v_add_nc_u32_e32 v7, v10, v0
	v_add_nc_u32_e32 v5, v7, v10
	s_cbranch_scc1 .LBB21_3
; %bb.2:
	v_subrev_nc_u32_e32 v1, s17, v0
	v_add_co_u32 v6, s0, s26, v9
	s_delay_alu instid0(VALU_DEP_1) | instskip(NEXT) | instid1(VALU_DEP_3)
	v_add_co_ci_u32_e64 v13, null, s27, 0, s0
	v_lshlrev_b64 v[3:4], 2, v[1:2]
	v_subrev_nc_u32_e32 v1, s17, v7
	s_add_i32 s5, s25, s17
	s_delay_alu instid0(VALU_DEP_2) | instskip(SKIP_1) | instid1(VALU_DEP_4)
	v_add_co_u32 v15, s0, s3, v3
	v_mov_b32_e32 v8, v2
	v_add_co_ci_u32_e64 v14, s0, s4, v4, s0
	v_lshlrev_b64 v[3:4], 2, v[1:2]
	v_subrev_nc_u32_e32 v1, s17, v5
	s_delay_alu instid0(VALU_DEP_3) | instskip(SKIP_1) | instid1(VALU_DEP_3)
	v_dual_cndmask_b32 v14, v14, v13 :: v_dual_cndmask_b32 v13, v15, v6
	v_lshlrev_b64 v[11:12], 2, v[7:8]
	v_lshlrev_b64 v[15:16], 2, v[1:2]
	v_add_nc_u32_e32 v1, v5, v10
	s_delay_alu instid0(VALU_DEP_3) | instskip(NEXT) | instid1(VALU_DEP_4)
	v_add_co_u32 v8, vcc_lo, s26, v11
	v_add_co_ci_u32_e32 v17, vcc_lo, s27, v12, vcc_lo
	v_add_co_u32 v18, vcc_lo, s3, v3
	s_delay_alu instid0(VALU_DEP_4) | instskip(SKIP_3) | instid1(VALU_DEP_1)
	v_lshlrev_b64 v[11:12], 2, v[1:2]
	v_add_co_ci_u32_e32 v19, vcc_lo, s4, v4, vcc_lo
	v_cmp_gt_u32_e32 vcc_lo, s17, v7
	v_mov_b32_e32 v6, v2
	v_lshlrev_b64 v[3:4], 2, v[5:6]
	v_add_co_u32 v6, s0, s26, v11
	s_delay_alu instid0(VALU_DEP_1)
	v_add_co_ci_u32_e64 v20, s0, s27, v12, s0
	v_cmp_gt_u32_e64 s0, s17, v1
	v_subrev_nc_u32_e32 v1, s17, v1
	v_add_co_u32 v11, s1, s26, v3
	v_cndmask_b32_e32 v3, v19, v17, vcc_lo
	v_add_co_ci_u32_e64 v4, s1, s27, v4, s1
	s_delay_alu instid0(VALU_DEP_4) | instskip(SKIP_1) | instid1(VALU_DEP_1)
	v_lshlrev_b64 v[1:2], 2, v[1:2]
	v_add_co_u32 v15, s1, s3, v15
	v_add_co_ci_u32_e64 v12, s1, s4, v16, s1
	v_cmp_gt_u32_e64 s1, s17, v5
	s_delay_alu instid0(VALU_DEP_4) | instskip(NEXT) | instid1(VALU_DEP_1)
	v_add_co_u32 v1, s2, s3, v1
	v_add_co_ci_u32_e64 v16, s2, s4, v2, s2
	v_cndmask_b32_e32 v2, v18, v8, vcc_lo
	s_delay_alu instid0(VALU_DEP_4) | instskip(SKIP_1) | instid1(VALU_DEP_4)
	v_cndmask_b32_e64 v12, v12, v4, s1
	v_cndmask_b32_e64 v11, v15, v11, s1
	;; [unrolled: 1-line block ×4, first 2 shown]
	global_load_b32 v1, v[13:14], off
	global_load_b32 v2, v[2:3], off
	;; [unrolled: 1-line block ×4, first 2 shown]
	s_mov_b32 s0, s15
	s_delay_alu instid0(SALU_CYCLE_1)
	s_and_not1_b32 vcc_lo, exec_lo, s0
	s_cbranch_vccz .LBB21_4
	s_branch .LBB21_11
.LBB21_3:
                                        ; implicit-def: $vgpr1_vgpr2_vgpr3_vgpr4
                                        ; implicit-def: $sgpr5
	s_and_not1_b32 vcc_lo, exec_lo, s0
	s_cbranch_vccnz .LBB21_11
.LBB21_4:
	s_add_i32 s5, s25, s17
	s_mov_b32 s0, exec_lo
                                        ; implicit-def: $vgpr1_vgpr2_vgpr3_vgpr4
	v_cmpx_gt_u32_e64 s5, v0
	s_cbranch_execnz .LBB21_70
; %bb.5:
	s_or_b32 exec_lo, exec_lo, s0
	s_delay_alu instid0(SALU_CYCLE_1)
	s_mov_b32 s1, exec_lo
	v_cmpx_gt_u32_e64 s5, v7
	s_cbranch_execnz .LBB21_71
.LBB21_6:
	s_or_b32 exec_lo, exec_lo, s1
	s_delay_alu instid0(SALU_CYCLE_1)
	s_mov_b32 s0, exec_lo
	v_cmpx_gt_u32_e64 s5, v5
	s_cbranch_execz .LBB21_8
.LBB21_7:
	v_mov_b32_e32 v6, 0
	v_subrev_nc_u32_e32 v7, s17, v5
	s_delay_alu instid0(VALU_DEP_2) | instskip(SKIP_1) | instid1(VALU_DEP_2)
	v_mov_b32_e32 v8, v6
	v_lshlrev_b64 v[11:12], 2, v[5:6]
	v_lshlrev_b64 v[6:7], 2, v[7:8]
	s_waitcnt vmcnt(1)
	s_delay_alu instid0(VALU_DEP_2) | instskip(NEXT) | instid1(VALU_DEP_3)
	v_add_co_u32 v3, vcc_lo, s26, v11
	v_add_co_ci_u32_e32 v8, vcc_lo, s27, v12, vcc_lo
	s_delay_alu instid0(VALU_DEP_3) | instskip(NEXT) | instid1(VALU_DEP_4)
	v_add_co_u32 v6, vcc_lo, s3, v6
	v_add_co_ci_u32_e32 v7, vcc_lo, s4, v7, vcc_lo
	v_cmp_gt_u32_e32 vcc_lo, s17, v5
	s_delay_alu instid0(VALU_DEP_2)
	v_dual_cndmask_b32 v7, v7, v8 :: v_dual_cndmask_b32 v6, v6, v3
	global_load_b32 v3, v[6:7], off
.LBB21_8:
	s_or_b32 exec_lo, exec_lo, s0
	v_add_nc_u32_e32 v5, v5, v10
	s_mov_b32 s1, exec_lo
	s_delay_alu instid0(VALU_DEP_1)
	v_cmpx_gt_u32_e64 s5, v5
	s_cbranch_execz .LBB21_10
; %bb.9:
	v_mov_b32_e32 v6, 0
	s_delay_alu instid0(VALU_DEP_1) | instskip(NEXT) | instid1(VALU_DEP_1)
	v_lshlrev_b64 v[7:8], 2, v[5:6]
	v_add_co_u32 v7, vcc_lo, s26, v7
	s_delay_alu instid0(VALU_DEP_2) | instskip(SKIP_3) | instid1(VALU_DEP_1)
	v_add_co_ci_u32_e32 v8, vcc_lo, s27, v8, vcc_lo
	v_cmp_gt_u32_e32 vcc_lo, s17, v5
	v_subrev_nc_u32_e32 v5, s17, v5
	s_waitcnt vmcnt(0)
	v_lshlrev_b64 v[4:5], 2, v[5:6]
	s_delay_alu instid0(VALU_DEP_1) | instskip(NEXT) | instid1(VALU_DEP_1)
	v_add_co_u32 v4, s0, s3, v4
	v_add_co_ci_u32_e64 v5, s0, s4, v5, s0
	s_delay_alu instid0(VALU_DEP_1)
	v_dual_cndmask_b32 v4, v4, v7 :: v_dual_cndmask_b32 v5, v5, v8
	global_load_b32 v4, v[4:5], off
.LBB21_10:
	s_or_b32 exec_lo, exec_lo, s1
.LBB21_11:
	v_min_u32_e32 v6, s5, v9
	s_mov_b32 s0, exec_lo
	s_waitcnt vmcnt(0)
	ds_store_2addr_stride64_b32 v9, v1, v2 offset1:4
	ds_store_2addr_stride64_b32 v9, v3, v4 offset0:8 offset1:12
	s_waitcnt lgkmcnt(0)
	s_barrier
	v_sub_nc_u32_e64 v5, v6, s25 clamp
	v_min_u32_e32 v7, s17, v6
	buffer_gl0_inv
	v_cmpx_lt_u32_e64 v5, v7
	s_cbranch_execz .LBB21_15
; %bb.12:
	v_lshlrev_b32_e32 v8, 2, v6
	s_mov_b32 s1, 0
	s_delay_alu instid0(VALU_DEP_1)
	v_lshl_add_u32 v8, s17, 2, v8
	.p2align	6
.LBB21_13:                              ; =>This Inner Loop Header: Depth=1
	v_add_nc_u32_e32 v10, v7, v5
	s_delay_alu instid0(VALU_DEP_1) | instskip(NEXT) | instid1(VALU_DEP_1)
	v_lshrrev_b32_e32 v10, 1, v10
	v_not_b32_e32 v11, v10
	v_add_nc_u32_e32 v13, 1, v10
	v_lshlrev_b32_e32 v12, 2, v10
	s_delay_alu instid0(VALU_DEP_3)
	v_lshl_add_u32 v11, v11, 2, v8
	ds_load_b32 v12, v12
	ds_load_b32 v11, v11
	s_waitcnt lgkmcnt(1)
	v_and_b32_e32 v12, s19, v12
	s_waitcnt lgkmcnt(0)
	v_and_b32_e32 v11, s19, v11
	s_delay_alu instid0(VALU_DEP_1) | instskip(SKIP_2) | instid1(VALU_DEP_1)
	v_cmp_gt_i32_e32 vcc_lo, v12, v11
	v_cndmask_b32_e32 v7, v7, v10, vcc_lo
	v_cndmask_b32_e32 v5, v13, v5, vcc_lo
	v_cmp_ge_u32_e32 vcc_lo, v5, v7
	s_or_b32 s1, vcc_lo, s1
	s_delay_alu instid0(SALU_CYCLE_1)
	s_and_not1_b32 exec_lo, exec_lo, s1
	s_cbranch_execnz .LBB21_13
; %bb.14:
	s_or_b32 exec_lo, exec_lo, s1
.LBB21_15:
	s_delay_alu instid0(SALU_CYCLE_1) | instskip(SKIP_2) | instid1(VALU_DEP_2)
	s_or_b32 exec_lo, exec_lo, s0
	v_sub_nc_u32_e32 v6, v6, v5
	v_cmp_ge_u32_e32 vcc_lo, s17, v5
                                        ; implicit-def: $vgpr11
                                        ; implicit-def: $vgpr14
                                        ; implicit-def: $vgpr13
                                        ; implicit-def: $vgpr12
	v_add_nc_u32_e32 v6, s17, v6
	s_delay_alu instid0(VALU_DEP_1) | instskip(NEXT) | instid1(VALU_DEP_1)
	v_cmp_ge_u32_e64 s0, s5, v6
	s_or_b32 s0, vcc_lo, s0
	s_delay_alu instid0(SALU_CYCLE_1)
	s_and_saveexec_b32 s13, s0
	s_cbranch_execz .LBB21_21
; %bb.16:
	v_cmp_gt_u32_e32 vcc_lo, s17, v5
                                        ; implicit-def: $vgpr1
	s_and_saveexec_b32 s0, vcc_lo
	s_cbranch_execz .LBB21_18
; %bb.17:
	v_lshlrev_b32_e32 v1, 2, v5
	ds_load_b32 v1, v1
.LBB21_18:
	s_or_b32 exec_lo, exec_lo, s0
	v_cmp_le_u32_e64 s0, s5, v6
	s_mov_b32 s2, exec_lo
                                        ; implicit-def: $vgpr2
	v_cmpx_gt_u32_e64 s5, v6
	s_cbranch_execz .LBB21_20
; %bb.19:
	v_lshlrev_b32_e32 v2, 2, v6
	ds_load_b32 v2, v2
.LBB21_20:
	s_or_b32 exec_lo, exec_lo, s2
	s_waitcnt lgkmcnt(0)
	v_and_b32_e32 v3, s19, v2
	v_and_b32_e32 v4, s19, v1
	s_delay_alu instid0(VALU_DEP_1) | instskip(SKIP_1) | instid1(VALU_DEP_2)
	v_cmp_le_i32_e64 s1, v4, v3
	v_mov_b32_e32 v3, s17
	s_and_b32 s1, vcc_lo, s1
	s_delay_alu instid0(SALU_CYCLE_1) | instskip(SKIP_1) | instid1(VALU_DEP_1)
	s_or_b32 vcc_lo, s0, s1
	v_cndmask_b32_e32 v12, v6, v5, vcc_lo
	v_dual_cndmask_b32 v4, s5, v3 :: v_dual_add_nc_u32 v7, 1, v12
	s_delay_alu instid0(VALU_DEP_1) | instskip(NEXT) | instid1(VALU_DEP_1)
	v_dual_cndmask_b32 v5, v5, v7 :: v_dual_add_nc_u32 v4, -1, v4
	v_min_u32_e32 v4, v7, v4
	v_cndmask_b32_e32 v6, v7, v6, vcc_lo
	s_delay_alu instid0(VALU_DEP_3) | instskip(NEXT) | instid1(VALU_DEP_3)
	v_cmp_gt_u32_e64 s0, s17, v5
	v_lshlrev_b32_e32 v4, 2, v4
	s_delay_alu instid0(VALU_DEP_3) | instskip(SKIP_4) | instid1(VALU_DEP_1)
	v_cmp_le_u32_e64 s2, s5, v6
	ds_load_b32 v4, v4
	s_waitcnt lgkmcnt(0)
	v_cndmask_b32_e32 v8, v4, v2, vcc_lo
	v_dual_cndmask_b32 v4, v1, v4 :: v_dual_cndmask_b32 v1, v2, v1
	v_and_b32_e32 v11, s19, v4
	s_delay_alu instid0(VALU_DEP_3) | instskip(NEXT) | instid1(VALU_DEP_1)
	v_and_b32_e32 v10, s19, v8
	v_cmp_le_i32_e64 s1, v11, v10
	s_delay_alu instid0(VALU_DEP_1) | instskip(NEXT) | instid1(SALU_CYCLE_1)
	s_and_b32 s0, s0, s1
	s_or_b32 s0, s2, s0
	s_delay_alu instid0(SALU_CYCLE_1) | instskip(SKIP_1) | instid1(VALU_DEP_2)
	v_cndmask_b32_e64 v13, v6, v5, s0
	v_cndmask_b32_e64 v7, s5, v3, s0
	v_add_nc_u32_e32 v10, 1, v13
	s_delay_alu instid0(VALU_DEP_2) | instskip(SKIP_1) | instid1(VALU_DEP_3)
	v_add_nc_u32_e32 v7, -1, v7
	v_cndmask_b32_e64 v2, v8, v4, s0
	v_cndmask_b32_e64 v5, v5, v10, s0
	s_delay_alu instid0(VALU_DEP_3) | instskip(NEXT) | instid1(VALU_DEP_2)
	v_min_u32_e32 v7, v10, v7
	v_cmp_gt_u32_e64 s1, s17, v5
	s_delay_alu instid0(VALU_DEP_2)
	v_lshlrev_b32_e32 v7, 2, v7
	v_cndmask_b32_e64 v6, v10, v6, s0
	ds_load_b32 v7, v7
	v_cmp_le_u32_e64 s3, s5, v6
	s_waitcnt lgkmcnt(0)
	v_cndmask_b32_e64 v11, v7, v8, s0
	v_cndmask_b32_e64 v7, v4, v7, s0
	s_delay_alu instid0(VALU_DEP_2) | instskip(NEXT) | instid1(VALU_DEP_2)
	v_and_b32_e32 v14, s19, v11
	v_and_b32_e32 v15, s19, v7
	s_delay_alu instid0(VALU_DEP_1) | instskip(NEXT) | instid1(VALU_DEP_1)
	v_cmp_le_i32_e64 s2, v15, v14
	s_and_b32 s1, s1, s2
	s_delay_alu instid0(SALU_CYCLE_1) | instskip(NEXT) | instid1(SALU_CYCLE_1)
	s_or_b32 s1, s3, s1
	v_cndmask_b32_e64 v14, v6, v5, s1
	v_cndmask_b32_e64 v3, s5, v3, s1
	s_delay_alu instid0(VALU_DEP_2) | instskip(NEXT) | instid1(VALU_DEP_2)
	v_add_nc_u32_e32 v10, 1, v14
	v_add_nc_u32_e32 v3, -1, v3
	s_delay_alu instid0(VALU_DEP_2) | instskip(NEXT) | instid1(VALU_DEP_2)
	v_cndmask_b32_e64 v5, v5, v10, s1
	v_min_u32_e32 v3, v10, v3
	v_cndmask_b32_e64 v6, v10, v6, s1
	s_delay_alu instid0(VALU_DEP_3) | instskip(NEXT) | instid1(VALU_DEP_3)
	v_cmp_gt_u32_e64 s2, s17, v5
	v_lshlrev_b32_e32 v3, 2, v3
	s_delay_alu instid0(VALU_DEP_3) | instskip(SKIP_4) | instid1(VALU_DEP_2)
	v_cmp_le_u32_e64 s4, s5, v6
	ds_load_b32 v3, v3
	s_waitcnt lgkmcnt(0)
	v_cndmask_b32_e64 v15, v3, v11, s1
	v_cndmask_b32_e64 v16, v7, v3, s1
	v_and_b32_e32 v3, s19, v15
	s_delay_alu instid0(VALU_DEP_2) | instskip(NEXT) | instid1(VALU_DEP_1)
	v_and_b32_e32 v17, s19, v16
	v_cmp_le_i32_e64 s3, v17, v3
	v_cndmask_b32_e64 v3, v11, v7, s1
	s_delay_alu instid0(VALU_DEP_2) | instskip(NEXT) | instid1(SALU_CYCLE_1)
	s_and_b32 s0, s2, s3
	s_or_b32 vcc_lo, s4, s0
	v_dual_cndmask_b32 v4, v15, v16 :: v_dual_cndmask_b32 v11, v6, v5
.LBB21_21:
	s_or_b32 exec_lo, exec_lo, s13
	s_add_u32 s3, s8, s14
	v_cmp_gt_u32_e64 s1, s17, v0
	v_cmp_le_u32_e64 s0, s17, v0
	v_or_b32_e32 v10, 0x100, v0
	v_or_b32_e32 v8, 0x200, v0
	;; [unrolled: 1-line block ×3, first 2 shown]
	s_addc_u32 s4, s9, 0
	s_add_u32 s13, s8, s20
	s_mov_b32 s2, 0
	s_addc_u32 s19, s9, 0
	s_and_not1_b32 vcc_lo, exec_lo, s18
	s_barrier
	buffer_gl0_inv
	s_cbranch_vccnz .LBB21_23
; %bb.22:
	v_subrev_nc_u32_e32 v5, s17, v0
	v_or_b32_e32 v15, 0x100, v0
	v_or_b32_e32 v21, 0x200, v0
	s_delay_alu instid0(VALU_DEP_3) | instskip(NEXT) | instid1(VALU_DEP_1)
	v_add_co_u32 v5, s2, s13, v5
	v_add_co_ci_u32_e64 v6, null, s19, 0, s2
	v_add_co_u32 v19, s2, s3, v0
	s_delay_alu instid0(VALU_DEP_1) | instskip(SKIP_1) | instid1(VALU_DEP_3)
	v_add_co_ci_u32_e64 v20, null, s4, 0, s2
	v_subrev_nc_u32_e32 v16, s17, v15
	v_add_co_u32 v17, vcc_lo, 0x100, v19
	s_delay_alu instid0(VALU_DEP_3) | instskip(NEXT) | instid1(VALU_DEP_3)
	v_add_co_ci_u32_e32 v18, vcc_lo, 0, v20, vcc_lo
	v_add_co_u32 v22, s2, s13, v16
	v_cmp_gt_u32_e32 vcc_lo, s17, v15
	v_subrev_nc_u32_e32 v15, s17, v21
	v_add_co_ci_u32_e64 v16, null, s19, 0, s2
	v_add_co_u32 v23, s2, 0x200, v19
	s_delay_alu instid0(VALU_DEP_1) | instskip(NEXT) | instid1(VALU_DEP_4)
	v_add_co_ci_u32_e64 v24, s2, 0, v20, s2
	v_add_co_u32 v25, s2, s13, v15
	s_delay_alu instid0(VALU_DEP_1) | instskip(SKIP_4) | instid1(VALU_DEP_4)
	v_add_co_ci_u32_e64 v26, null, s19, 0, s2
	v_cmp_gt_u32_e64 s2, s17, v21
	v_cndmask_b32_e64 v6, v6, v20, s1
	v_cndmask_b32_e64 v5, v5, v19, s1
	v_dual_cndmask_b32 v16, v16, v18 :: v_dual_cndmask_b32 v15, v22, v17
	v_cndmask_b32_e64 v18, v26, v24, s2
	v_cndmask_b32_e64 v17, v25, v23, s2
	global_load_u8 v21, v[5:6], off
	global_load_u8 v16, v[15:16], off
	;; [unrolled: 1-line block ×3, first 2 shown]
	v_or_b32_e32 v15, 0x300, v0
	v_add_co_u32 v18, vcc_lo, 0x300, v19
	v_add_co_ci_u32_e32 v6, vcc_lo, 0, v20, vcc_lo
	s_delay_alu instid0(VALU_DEP_3)
	v_subrev_nc_u32_e32 v5, s17, v15
	v_cmp_gt_u32_e32 vcc_lo, s17, v15
	s_mov_b32 s2, -1
	s_waitcnt vmcnt(2)
	ds_store_b8 v0, v21
	s_waitcnt vmcnt(1)
	ds_store_b8 v0, v16 offset:256
	s_waitcnt vmcnt(0)
	ds_store_b8 v0, v17 offset:512
	v_add_co_u32 v5, s1, s13, v5
	s_delay_alu instid0(VALU_DEP_1) | instskip(NEXT) | instid1(VALU_DEP_2)
	v_add_co_ci_u32_e64 v19, null, s19, 0, s1
	v_cndmask_b32_e32 v5, v5, v18, vcc_lo
	s_delay_alu instid0(VALU_DEP_2)
	v_cndmask_b32_e32 v6, v19, v6, vcc_lo
	s_cbranch_execz .LBB21_24
	s_branch .LBB21_43
.LBB21_23:
                                        ; implicit-def: $vgpr15
                                        ; implicit-def: $vgpr5_vgpr6
.LBB21_24:
	s_mov_b32 s1, 0
                                        ; implicit-def: $vgpr5_vgpr6
	s_and_saveexec_b32 s22, s0
	s_delay_alu instid0(SALU_CYCLE_1)
	s_xor_b32 s0, exec_lo, s22
	s_cbranch_execnz .LBB21_72
; %bb.25:
	s_and_not1_saveexec_b32 s0, s0
	s_cbranch_execnz .LBB21_75
.LBB21_26:
	s_or_b32 exec_lo, exec_lo, s0
	s_and_saveexec_b32 s0, s1
	s_cbranch_execz .LBB21_28
.LBB21_27:
	global_load_u8 v5, v[5:6], off
	s_waitcnt vmcnt(0)
	ds_store_b8 v0, v5
.LBB21_28:
	s_or_b32 exec_lo, exec_lo, s0
	v_dual_mov_b32 v5, s14 :: v_dual_mov_b32 v6, s15
	v_mov_b32_e32 v15, v10
	s_mov_b32 s0, -1
	s_mov_b32 s1, exec_lo
	v_cmpx_le_u32_e64 s17, v10
; %bb.29:
	v_subrev_nc_u32_e32 v15, s17, v10
	v_dual_mov_b32 v5, s20 :: v_dual_mov_b32 v6, s21
	s_delay_alu instid0(VALU_DEP_2)
	v_cmp_gt_u32_e32 vcc_lo, s25, v15
	s_or_not1_b32 s0, vcc_lo, exec_lo
; %bb.30:
	s_or_b32 exec_lo, exec_lo, s1
	s_and_saveexec_b32 s1, s0
	s_cbranch_execz .LBB21_32
; %bb.31:
	v_add_co_u32 v5, vcc_lo, s8, v5
	v_add_co_ci_u32_e32 v6, vcc_lo, s9, v6, vcc_lo
	s_delay_alu instid0(VALU_DEP_2) | instskip(NEXT) | instid1(VALU_DEP_2)
	v_add_co_u32 v5, vcc_lo, v5, v15
	v_add_co_ci_u32_e32 v6, vcc_lo, 0, v6, vcc_lo
	global_load_u8 v5, v[5:6], off
	s_waitcnt vmcnt(0)
	ds_store_b8 v0, v5 offset:256
.LBB21_32:
	s_or_b32 exec_lo, exec_lo, s1
	v_dual_mov_b32 v5, s14 :: v_dual_mov_b32 v6, s15
	v_mov_b32_e32 v15, v8
	s_mov_b32 s0, -1
	s_mov_b32 s1, exec_lo
	v_cmpx_le_u32_e64 s17, v8
; %bb.33:
	v_subrev_nc_u32_e32 v15, s17, v8
	v_dual_mov_b32 v5, s20 :: v_dual_mov_b32 v6, s21
	s_delay_alu instid0(VALU_DEP_2)
	v_cmp_gt_u32_e32 vcc_lo, s25, v15
	s_or_not1_b32 s0, vcc_lo, exec_lo
; %bb.34:
	s_or_b32 exec_lo, exec_lo, s1
	s_and_saveexec_b32 s1, s0
	s_cbranch_execz .LBB21_36
; %bb.35:
	v_add_co_u32 v5, vcc_lo, s8, v5
	v_add_co_ci_u32_e32 v6, vcc_lo, s9, v6, vcc_lo
	s_delay_alu instid0(VALU_DEP_2) | instskip(NEXT) | instid1(VALU_DEP_2)
	v_add_co_u32 v5, vcc_lo, v5, v15
	v_add_co_ci_u32_e32 v6, vcc_lo, 0, v6, vcc_lo
	global_load_u8 v5, v[5:6], off
	s_waitcnt vmcnt(0)
	ds_store_b8 v0, v5 offset:512
.LBB21_36:
	s_or_b32 exec_lo, exec_lo, s1
	s_delay_alu instid0(SALU_CYCLE_1)
	s_mov_b32 s0, exec_lo
                                        ; implicit-def: $vgpr15
                                        ; implicit-def: $vgpr5_vgpr6
	v_cmpx_le_u32_e64 s17, v7
	s_xor_b32 s0, exec_lo, s0
	s_cbranch_execz .LBB21_40
; %bb.37:
	v_subrev_nc_u32_e32 v16, s17, v7
	s_mov_b32 s1, s2
	s_mov_b32 s8, exec_lo
                                        ; implicit-def: $vgpr15
                                        ; implicit-def: $vgpr5_vgpr6
	s_delay_alu instid0(VALU_DEP_1)
	v_cmpx_gt_u32_e64 s25, v16
; %bb.38:
	v_add_co_u32 v5, s1, s13, v16
	v_or_b32_e32 v15, 0x300, v0
	v_add_co_ci_u32_e64 v6, null, s19, 0, s1
	s_or_b32 s1, s2, exec_lo
; %bb.39:
	s_or_b32 exec_lo, exec_lo, s8
	s_delay_alu instid0(SALU_CYCLE_1) | instskip(SKIP_1) | instid1(SALU_CYCLE_1)
	s_and_not1_b32 s2, s2, exec_lo
	s_and_b32 s1, s1, exec_lo
	s_or_b32 s2, s2, s1
.LBB21_40:
	s_and_not1_saveexec_b32 s0, s0
; %bb.41:
	v_add_co_u32 v5, s1, s3, v0
	s_delay_alu instid0(VALU_DEP_1) | instskip(SKIP_1) | instid1(VALU_DEP_3)
	v_add_co_ci_u32_e64 v6, null, s4, 0, s1
	v_mov_b32_e32 v15, v7
	v_add_co_u32 v5, vcc_lo, 0x300, v5
	s_delay_alu instid0(VALU_DEP_3)
	v_add_co_ci_u32_e32 v6, vcc_lo, 0, v6, vcc_lo
	s_or_b32 s2, s2, exec_lo
; %bb.42:
	s_or_b32 exec_lo, exec_lo, s0
.LBB21_43:
	s_and_saveexec_b32 s0, s2
	s_cbranch_execz .LBB21_45
; %bb.44:
	global_load_u8 v5, v[5:6], off
	s_waitcnt vmcnt(0)
	ds_store_b8 v15, v5
.LBB21_45:
	s_or_b32 exec_lo, exec_lo, s0
	v_add_nc_u32_e32 v15, s12, v9
	s_and_not1_b32 vcc_lo, exec_lo, s18
	s_waitcnt lgkmcnt(0)
	s_barrier
	buffer_gl0_inv
	s_cbranch_vccnz .LBB21_47
; %bb.46:
	ds_load_u8 v5, v13
	ds_load_u8 v6, v12
	;; [unrolled: 1-line block ×3, first 2 shown]
	s_mov_b32 s0, -1
	s_waitcnt lgkmcnt(2)
	v_lshlrev_b16 v5, 8, v5
	s_waitcnt lgkmcnt(1)
	s_delay_alu instid0(VALU_DEP_1)
	v_or_b32_e32 v5, v6, v5
	v_mov_b32_e32 v6, 0
	s_waitcnt lgkmcnt(0)
	s_clause 0x1
	global_store_b8 v15, v16, s[10:11] offset:2
	global_store_b16 v15, v5, s[10:11]
	s_cbranch_execz .LBB21_48
	s_branch .LBB21_57
.LBB21_47:
	s_mov_b32 s0, 0
                                        ; implicit-def: $vgpr5_vgpr6
.LBB21_48:
	s_mov_b32 s1, exec_lo
	v_cmpx_gt_u32_e64 s5, v9
	s_cbranch_execz .LBB21_50
; %bb.49:
	ds_load_u8 v5, v12
	s_waitcnt lgkmcnt(0)
	global_store_b8 v15, v5, s[10:11]
.LBB21_50:
	s_or_b32 exec_lo, exec_lo, s1
	v_or_b32_e32 v5, 1, v9
	s_mov_b32 s1, exec_lo
	s_delay_alu instid0(VALU_DEP_1)
	v_cmpx_gt_u32_e64 s5, v5
	s_cbranch_execz .LBB21_52
; %bb.51:
	ds_load_u8 v5, v13
	s_waitcnt lgkmcnt(0)
	global_store_b8 v15, v5, s[10:11] offset:1
.LBB21_52:
	s_or_b32 exec_lo, exec_lo, s1
	v_or_b32_e32 v5, 2, v9
	s_mov_b32 s1, exec_lo
	s_delay_alu instid0(VALU_DEP_1)
	v_cmpx_gt_u32_e64 s5, v5
	s_cbranch_execz .LBB21_54
; %bb.53:
	ds_load_u8 v5, v14
	s_waitcnt lgkmcnt(0)
	global_store_b8 v15, v5, s[10:11] offset:2
.LBB21_54:
	s_or_b32 exec_lo, exec_lo, s1
	v_or_b32_e32 v5, 3, v9
	s_mov_b32 s1, exec_lo
	s_delay_alu instid0(VALU_DEP_1)
	v_cmpx_gt_u32_e64 s5, v5
                                        ; implicit-def: $vgpr5_vgpr6
; %bb.55:
	v_mov_b32_e32 v6, 0
	s_or_b32 s0, s0, exec_lo
; %bb.56:
	s_or_b32 exec_lo, exec_lo, s1
.LBB21_57:
	s_and_saveexec_b32 s1, s0
	s_cbranch_execz .LBB21_59
; %bb.58:
	ds_load_u8 v11, v11
	v_add_co_u32 v5, vcc_lo, s10, v15
	v_add_co_ci_u32_e32 v6, vcc_lo, s11, v6, vcc_lo
	s_waitcnt lgkmcnt(0)
	global_store_b8 v[5:6], v11, off offset:3
.LBB21_59:
	s_or_b32 exec_lo, exec_lo, s1
	v_lshrrev_b32_e32 v5, 3, v0
	v_lshlrev_b32_e32 v6, 2, v9
	v_lshrrev_b32_e32 v11, 3, v10
	v_lshrrev_b32_e32 v12, 3, v8
	v_lshrrev_b32_e32 v13, 3, v7
	s_mov_b32 s13, 0
	v_lshl_add_u32 v6, v5, 2, v6
	s_lshl_b64 s[0:1], s[12:13], 2
	v_and_b32_e32 v5, 28, v5
	v_and_b32_e32 v11, 60, v11
	;; [unrolled: 1-line block ×4, first 2 shown]
	s_add_u32 s0, s6, s0
	s_waitcnt_vscnt null, 0x0
	s_barrier
	buffer_gl0_inv
	s_barrier
	buffer_gl0_inv
	s_addc_u32 s1, s7, s1
	ds_store_2addr_b32 v6, v1, v2 offset1:1
	ds_store_2addr_b32 v6, v3, v4 offset0:2 offset1:3
	v_add_co_u32 v1, s0, s0, v9
	v_add_nc_u32_e32 v4, v9, v5
	v_add_nc_u32_e32 v5, v9, v11
	;; [unrolled: 1-line block ×4, first 2 shown]
	v_add_co_ci_u32_e64 v2, null, s1, 0, s0
	s_and_b32 vcc_lo, exec_lo, s18
	s_waitcnt lgkmcnt(0)
	s_cbranch_vccz .LBB21_61
; %bb.60:
	s_barrier
	buffer_gl0_inv
	ds_load_b32 v9, v4
	ds_load_b32 v12, v5 offset:1024
	ds_load_b32 v13, v6 offset:2048
	;; [unrolled: 1-line block ×3, first 2 shown]
	s_mov_b32 s13, -1
	s_waitcnt lgkmcnt(3)
	global_store_b32 v[1:2], v9, off
	s_waitcnt lgkmcnt(2)
	global_store_b32 v[1:2], v12, off offset:1024
	s_waitcnt lgkmcnt(1)
	global_store_b32 v[1:2], v13, off offset:2048
	s_cbranch_execz .LBB21_62
	s_branch .LBB21_67
.LBB21_61:
                                        ; implicit-def: $vgpr3
.LBB21_62:
	s_waitcnt lgkmcnt(0)
	s_waitcnt_vscnt null, 0x0
	s_barrier
	buffer_gl0_inv
	ds_load_b32 v9, v5 offset:1024
	ds_load_b32 v5, v6 offset:2048
	;; [unrolled: 1-line block ×3, first 2 shown]
	s_sub_i32 s0, s16, s12
	s_mov_b32 s1, exec_lo
	v_cmpx_gt_u32_e64 s0, v0
	s_cbranch_execnz .LBB21_76
; %bb.63:
	s_or_b32 exec_lo, exec_lo, s1
	s_delay_alu instid0(SALU_CYCLE_1)
	s_mov_b32 s1, exec_lo
	v_cmpx_gt_u32_e64 s0, v10
	s_cbranch_execnz .LBB21_77
.LBB21_64:
	s_or_b32 exec_lo, exec_lo, s1
	s_delay_alu instid0(SALU_CYCLE_1)
	s_mov_b32 s1, exec_lo
	v_cmpx_gt_u32_e64 s0, v8
	s_cbranch_execz .LBB21_66
.LBB21_65:
	s_waitcnt lgkmcnt(1)
	global_store_b32 v[1:2], v5, off offset:2048
.LBB21_66:
	s_or_b32 exec_lo, exec_lo, s1
	v_cmp_gt_u32_e64 s13, s0, v7
.LBB21_67:
	s_delay_alu instid0(VALU_DEP_1)
	s_and_saveexec_b32 s0, s13
	s_cbranch_execz .LBB21_69
; %bb.68:
	s_waitcnt lgkmcnt(0)
	global_store_b32 v[1:2], v3, off offset:3072
.LBB21_69:
	s_nop 0
	s_sendmsg sendmsg(MSG_DEALLOC_VGPRS)
	s_endpgm
.LBB21_70:
	s_waitcnt vmcnt(3)
	v_subrev_nc_u32_e32 v1, s17, v0
	s_waitcnt vmcnt(1)
	v_add_co_u32 v3, s1, s26, v9
	v_mov_b32_e32 v2, 0
	s_waitcnt vmcnt(0)
	v_add_co_ci_u32_e64 v4, null, s27, 0, s1
	s_delay_alu instid0(VALU_DEP_2) | instskip(NEXT) | instid1(VALU_DEP_1)
	v_lshlrev_b64 v[1:2], 2, v[1:2]
	v_add_co_u32 v1, vcc_lo, s3, v1
	s_delay_alu instid0(VALU_DEP_2) | instskip(SKIP_1) | instid1(VALU_DEP_2)
	v_add_co_ci_u32_e32 v2, vcc_lo, s4, v2, vcc_lo
	v_cmp_gt_u32_e32 vcc_lo, s17, v0
	v_dual_cndmask_b32 v1, v1, v3 :: v_dual_cndmask_b32 v2, v2, v4
	global_load_b32 v1, v[1:2], off
	s_or_b32 exec_lo, exec_lo, s0
	s_delay_alu instid0(SALU_CYCLE_1)
	s_mov_b32 s1, exec_lo
	v_cmpx_gt_u32_e64 s5, v7
	s_cbranch_execz .LBB21_6
.LBB21_71:
	v_mov_b32_e32 v8, 0
	s_delay_alu instid0(VALU_DEP_1) | instskip(SKIP_1) | instid1(VALU_DEP_1)
	v_lshlrev_b64 v[11:12], 2, v[7:8]
	s_waitcnt vmcnt(2)
	v_add_co_u32 v2, vcc_lo, s26, v11
	s_delay_alu instid0(VALU_DEP_2) | instskip(SKIP_2) | instid1(VALU_DEP_1)
	v_add_co_ci_u32_e32 v11, vcc_lo, s27, v12, vcc_lo
	v_cmp_gt_u32_e32 vcc_lo, s17, v7
	v_subrev_nc_u32_e32 v7, s17, v7
	v_lshlrev_b64 v[6:7], 2, v[7:8]
	s_delay_alu instid0(VALU_DEP_1) | instskip(NEXT) | instid1(VALU_DEP_1)
	v_add_co_u32 v6, s0, s3, v6
	v_add_co_ci_u32_e64 v7, s0, s4, v7, s0
	s_delay_alu instid0(VALU_DEP_1) | instskip(SKIP_2) | instid1(SALU_CYCLE_1)
	v_dual_cndmask_b32 v6, v6, v2 :: v_dual_cndmask_b32 v7, v7, v11
	global_load_b32 v2, v[6:7], off
	s_or_b32 exec_lo, exec_lo, s1
	s_mov_b32 s0, exec_lo
	v_cmpx_gt_u32_e64 s5, v5
	s_cbranch_execnz .LBB21_7
	s_branch .LBB21_8
.LBB21_72:
	v_subrev_nc_u32_e32 v15, s17, v0
	s_mov_b32 s22, exec_lo
                                        ; implicit-def: $vgpr5_vgpr6
	s_delay_alu instid0(VALU_DEP_1)
	v_cmpx_gt_u32_e64 s25, v15
	s_xor_b32 s22, exec_lo, s22
; %bb.73:
	v_add_co_u32 v5, s23, s13, v15
	s_mov_b32 s1, exec_lo
	v_add_co_ci_u32_e64 v6, null, s19, 0, s23
; %bb.74:
	s_or_b32 exec_lo, exec_lo, s22
	s_delay_alu instid0(SALU_CYCLE_1)
	s_and_b32 s1, s1, exec_lo
	s_and_not1_saveexec_b32 s0, s0
	s_cbranch_execz .LBB21_26
.LBB21_75:
	v_add_co_u32 v5, s22, s3, v0
	s_delay_alu instid0(VALU_DEP_1)
	v_add_co_ci_u32_e64 v6, null, s4, 0, s22
	s_or_b32 s1, s1, exec_lo
	s_or_b32 exec_lo, exec_lo, s0
	s_and_saveexec_b32 s0, s1
	s_cbranch_execnz .LBB21_27
	s_branch .LBB21_28
.LBB21_76:
	ds_load_b32 v0, v4
	s_waitcnt lgkmcnt(0)
	global_store_b32 v[1:2], v0, off
	s_or_b32 exec_lo, exec_lo, s1
	s_delay_alu instid0(SALU_CYCLE_1)
	s_mov_b32 s1, exec_lo
	v_cmpx_gt_u32_e64 s0, v10
	s_cbranch_execz .LBB21_64
.LBB21_77:
	s_waitcnt lgkmcnt(2)
	global_store_b32 v[1:2], v9, off offset:1024
	s_or_b32 exec_lo, exec_lo, s1
	s_delay_alu instid0(SALU_CYCLE_1)
	s_mov_b32 s1, exec_lo
	v_cmpx_gt_u32_e64 s0, v8
	s_cbranch_execnz .LBB21_65
	s_branch .LBB21_66
	.section	.rodata,"a",@progbits
	.p2align	6, 0x0
	.amdhsa_kernel _ZN7rocprim17ROCPRIM_304000_NS6detail35device_block_merge_mergepath_kernelINS1_37wrapped_merge_sort_block_merge_configINS0_14default_configEiN2at4cuda3cub6detail10OpaqueTypeILi1EEEEEPiSC_PSA_SD_jNS1_19radix_merge_compareILb0ELb1EiNS0_19identity_decomposerEEEEEvT0_T1_T2_T3_T4_SL_jT5_PKSL_NS1_7vsmem_tE
		.amdhsa_group_segment_fixed_size 4224
		.amdhsa_private_segment_fixed_size 0
		.amdhsa_kernarg_size 320
		.amdhsa_user_sgpr_count 13
		.amdhsa_user_sgpr_dispatch_ptr 0
		.amdhsa_user_sgpr_queue_ptr 0
		.amdhsa_user_sgpr_kernarg_segment_ptr 1
		.amdhsa_user_sgpr_dispatch_id 0
		.amdhsa_user_sgpr_private_segment_size 0
		.amdhsa_wavefront_size32 1
		.amdhsa_uses_dynamic_stack 0
		.amdhsa_enable_private_segment 0
		.amdhsa_system_sgpr_workgroup_id_x 1
		.amdhsa_system_sgpr_workgroup_id_y 1
		.amdhsa_system_sgpr_workgroup_id_z 1
		.amdhsa_system_sgpr_workgroup_info 0
		.amdhsa_system_vgpr_workitem_id 0
		.amdhsa_next_free_vgpr 27
		.amdhsa_next_free_sgpr 29
		.amdhsa_reserve_vcc 1
		.amdhsa_float_round_mode_32 0
		.amdhsa_float_round_mode_16_64 0
		.amdhsa_float_denorm_mode_32 3
		.amdhsa_float_denorm_mode_16_64 3
		.amdhsa_dx10_clamp 1
		.amdhsa_ieee_mode 1
		.amdhsa_fp16_overflow 0
		.amdhsa_workgroup_processor_mode 1
		.amdhsa_memory_ordered 1
		.amdhsa_forward_progress 0
		.amdhsa_shared_vgpr_count 0
		.amdhsa_exception_fp_ieee_invalid_op 0
		.amdhsa_exception_fp_denorm_src 0
		.amdhsa_exception_fp_ieee_div_zero 0
		.amdhsa_exception_fp_ieee_overflow 0
		.amdhsa_exception_fp_ieee_underflow 0
		.amdhsa_exception_fp_ieee_inexact 0
		.amdhsa_exception_int_div_zero 0
	.end_amdhsa_kernel
	.section	.text._ZN7rocprim17ROCPRIM_304000_NS6detail35device_block_merge_mergepath_kernelINS1_37wrapped_merge_sort_block_merge_configINS0_14default_configEiN2at4cuda3cub6detail10OpaqueTypeILi1EEEEEPiSC_PSA_SD_jNS1_19radix_merge_compareILb0ELb1EiNS0_19identity_decomposerEEEEEvT0_T1_T2_T3_T4_SL_jT5_PKSL_NS1_7vsmem_tE,"axG",@progbits,_ZN7rocprim17ROCPRIM_304000_NS6detail35device_block_merge_mergepath_kernelINS1_37wrapped_merge_sort_block_merge_configINS0_14default_configEiN2at4cuda3cub6detail10OpaqueTypeILi1EEEEEPiSC_PSA_SD_jNS1_19radix_merge_compareILb0ELb1EiNS0_19identity_decomposerEEEEEvT0_T1_T2_T3_T4_SL_jT5_PKSL_NS1_7vsmem_tE,comdat
.Lfunc_end21:
	.size	_ZN7rocprim17ROCPRIM_304000_NS6detail35device_block_merge_mergepath_kernelINS1_37wrapped_merge_sort_block_merge_configINS0_14default_configEiN2at4cuda3cub6detail10OpaqueTypeILi1EEEEEPiSC_PSA_SD_jNS1_19radix_merge_compareILb0ELb1EiNS0_19identity_decomposerEEEEEvT0_T1_T2_T3_T4_SL_jT5_PKSL_NS1_7vsmem_tE, .Lfunc_end21-_ZN7rocprim17ROCPRIM_304000_NS6detail35device_block_merge_mergepath_kernelINS1_37wrapped_merge_sort_block_merge_configINS0_14default_configEiN2at4cuda3cub6detail10OpaqueTypeILi1EEEEEPiSC_PSA_SD_jNS1_19radix_merge_compareILb0ELb1EiNS0_19identity_decomposerEEEEEvT0_T1_T2_T3_T4_SL_jT5_PKSL_NS1_7vsmem_tE
                                        ; -- End function
	.section	.AMDGPU.csdata,"",@progbits
; Kernel info:
; codeLenInByte = 3876
; NumSgprs: 31
; NumVgprs: 27
; ScratchSize: 0
; MemoryBound: 0
; FloatMode: 240
; IeeeMode: 1
; LDSByteSize: 4224 bytes/workgroup (compile time only)
; SGPRBlocks: 3
; VGPRBlocks: 3
; NumSGPRsForWavesPerEU: 31
; NumVGPRsForWavesPerEU: 27
; Occupancy: 16
; WaveLimiterHint : 1
; COMPUTE_PGM_RSRC2:SCRATCH_EN: 0
; COMPUTE_PGM_RSRC2:USER_SGPR: 13
; COMPUTE_PGM_RSRC2:TRAP_HANDLER: 0
; COMPUTE_PGM_RSRC2:TGID_X_EN: 1
; COMPUTE_PGM_RSRC2:TGID_Y_EN: 1
; COMPUTE_PGM_RSRC2:TGID_Z_EN: 1
; COMPUTE_PGM_RSRC2:TIDIG_COMP_CNT: 0
	.section	.text._ZN7rocprim17ROCPRIM_304000_NS6detail33device_block_merge_oddeven_kernelINS1_37wrapped_merge_sort_block_merge_configINS0_14default_configEiN2at4cuda3cub6detail10OpaqueTypeILi1EEEEEPiSC_PSA_SD_jNS1_19radix_merge_compareILb0ELb1EiNS0_19identity_decomposerEEEEEvT0_T1_T2_T3_T4_SL_T5_,"axG",@progbits,_ZN7rocprim17ROCPRIM_304000_NS6detail33device_block_merge_oddeven_kernelINS1_37wrapped_merge_sort_block_merge_configINS0_14default_configEiN2at4cuda3cub6detail10OpaqueTypeILi1EEEEEPiSC_PSA_SD_jNS1_19radix_merge_compareILb0ELb1EiNS0_19identity_decomposerEEEEEvT0_T1_T2_T3_T4_SL_T5_,comdat
	.protected	_ZN7rocprim17ROCPRIM_304000_NS6detail33device_block_merge_oddeven_kernelINS1_37wrapped_merge_sort_block_merge_configINS0_14default_configEiN2at4cuda3cub6detail10OpaqueTypeILi1EEEEEPiSC_PSA_SD_jNS1_19radix_merge_compareILb0ELb1EiNS0_19identity_decomposerEEEEEvT0_T1_T2_T3_T4_SL_T5_ ; -- Begin function _ZN7rocprim17ROCPRIM_304000_NS6detail33device_block_merge_oddeven_kernelINS1_37wrapped_merge_sort_block_merge_configINS0_14default_configEiN2at4cuda3cub6detail10OpaqueTypeILi1EEEEEPiSC_PSA_SD_jNS1_19radix_merge_compareILb0ELb1EiNS0_19identity_decomposerEEEEEvT0_T1_T2_T3_T4_SL_T5_
	.globl	_ZN7rocprim17ROCPRIM_304000_NS6detail33device_block_merge_oddeven_kernelINS1_37wrapped_merge_sort_block_merge_configINS0_14default_configEiN2at4cuda3cub6detail10OpaqueTypeILi1EEEEEPiSC_PSA_SD_jNS1_19radix_merge_compareILb0ELb1EiNS0_19identity_decomposerEEEEEvT0_T1_T2_T3_T4_SL_T5_
	.p2align	8
	.type	_ZN7rocprim17ROCPRIM_304000_NS6detail33device_block_merge_oddeven_kernelINS1_37wrapped_merge_sort_block_merge_configINS0_14default_configEiN2at4cuda3cub6detail10OpaqueTypeILi1EEEEEPiSC_PSA_SD_jNS1_19radix_merge_compareILb0ELb1EiNS0_19identity_decomposerEEEEEvT0_T1_T2_T3_T4_SL_T5_,@function
_ZN7rocprim17ROCPRIM_304000_NS6detail33device_block_merge_oddeven_kernelINS1_37wrapped_merge_sort_block_merge_configINS0_14default_configEiN2at4cuda3cub6detail10OpaqueTypeILi1EEEEEPiSC_PSA_SD_jNS1_19radix_merge_compareILb0ELb1EiNS0_19identity_decomposerEEEEEvT0_T1_T2_T3_T4_SL_T5_: ; @_ZN7rocprim17ROCPRIM_304000_NS6detail33device_block_merge_oddeven_kernelINS1_37wrapped_merge_sort_block_merge_configINS0_14default_configEiN2at4cuda3cub6detail10OpaqueTypeILi1EEEEEPiSC_PSA_SD_jNS1_19radix_merge_compareILb0ELb1EiNS0_19identity_decomposerEEEEEvT0_T1_T2_T3_T4_SL_T5_
; %bb.0:
	s_load_b128 s[16:19], s[0:1], 0x20
	s_waitcnt lgkmcnt(0)
	s_lshr_b32 s2, s16, 8
	s_delay_alu instid0(SALU_CYCLE_1) | instskip(SKIP_4) | instid1(SALU_CYCLE_1)
	s_cmp_lg_u32 s15, s2
	s_cselect_b32 s4, -1, 0
	s_cmp_eq_u32 s15, s2
	s_cselect_b32 s3, -1, 0
	s_lshl_b32 s12, s15, 8
	s_sub_i32 s2, s16, s12
	s_delay_alu instid0(SALU_CYCLE_1) | instskip(NEXT) | instid1(VALU_DEP_1)
	v_cmp_gt_u32_e64 s2, s2, v0
	s_or_b32 s4, s4, s2
	s_delay_alu instid0(SALU_CYCLE_1)
	s_and_saveexec_b32 s5, s4
	s_cbranch_execz .LBB22_26
; %bb.1:
	s_load_b256 s[4:11], s[0:1], 0x0
	s_mov_b32 s13, 0
	v_lshlrev_b32_e32 v1, 2, v0
	s_lshl_b64 s[0:1], s[12:13], 2
	v_add_nc_u32_e32 v2, s12, v0
	s_waitcnt lgkmcnt(0)
	s_add_u32 s0, s4, s0
	s_addc_u32 s1, s5, s1
	s_add_u32 s8, s8, s12
	s_addc_u32 s9, s9, 0
	global_load_u8 v4, v0, s[8:9]
	global_load_b32 v5, v1, s[0:1]
	s_lshr_b32 s0, s17, 8
	s_delay_alu instid0(SALU_CYCLE_1) | instskip(NEXT) | instid1(SALU_CYCLE_1)
	s_sub_i32 s1, 0, s0
	s_and_b32 s1, s15, s1
	s_delay_alu instid0(SALU_CYCLE_1) | instskip(SKIP_4) | instid1(SALU_CYCLE_1)
	s_and_b32 s0, s1, s0
	s_lshl_b32 s9, s1, 8
	s_sub_i32 s1, 0, s17
	s_cmp_eq_u32 s0, 0
	s_cselect_b32 s0, -1, 0
	s_and_b32 s8, s0, exec_lo
	s_cselect_b32 s1, s17, s1
	s_delay_alu instid0(SALU_CYCLE_1) | instskip(NEXT) | instid1(SALU_CYCLE_1)
	s_add_i32 s1, s1, s9
	s_cmp_lt_u32 s1, s16
	s_cbranch_scc1 .LBB22_6
; %bb.2:
	s_and_b32 vcc_lo, exec_lo, s3
	s_cbranch_vccz .LBB22_7
; %bb.3:
	s_mov_b32 s8, 0
	s_mov_b32 s12, exec_lo
                                        ; implicit-def: $vgpr0_vgpr1
	v_cmpx_gt_u32_e64 s16, v2
	s_cbranch_execz .LBB22_5
; %bb.4:
	v_mov_b32_e32 v3, 0
	s_mov_b32 s13, exec_lo
	s_delay_alu instid0(VALU_DEP_1) | instskip(NEXT) | instid1(VALU_DEP_1)
	v_lshlrev_b64 v[0:1], 2, v[2:3]
	v_add_co_u32 v6, vcc_lo, s6, v0
	v_add_co_u32 v0, s14, s10, v2
	s_delay_alu instid0(VALU_DEP_3)
	v_add_co_ci_u32_e32 v7, vcc_lo, s7, v1, vcc_lo
	v_add_co_ci_u32_e64 v1, null, s11, 0, s14
	s_waitcnt vmcnt(0)
	global_store_b32 v[6:7], v5, off
.LBB22_5:
	s_or_b32 exec_lo, exec_lo, s12
	s_delay_alu instid0(SALU_CYCLE_1)
	s_and_b32 vcc_lo, exec_lo, s8
	s_cbranch_vccnz .LBB22_8
	s_branch .LBB22_9
.LBB22_6:
                                        ; implicit-def: $vgpr0_vgpr1
	s_cbranch_execnz .LBB22_10
	s_branch .LBB22_24
.LBB22_7:
                                        ; implicit-def: $vgpr0_vgpr1
	s_cbranch_execz .LBB22_9
.LBB22_8:
	v_mov_b32_e32 v3, 0
	s_or_b32 s13, s13, exec_lo
	s_delay_alu instid0(VALU_DEP_1) | instskip(NEXT) | instid1(VALU_DEP_1)
	v_lshlrev_b64 v[0:1], 2, v[2:3]
	v_add_co_u32 v6, vcc_lo, s6, v0
	v_add_co_u32 v0, s8, s10, v2
	s_delay_alu instid0(VALU_DEP_3)
	v_add_co_ci_u32_e32 v7, vcc_lo, s7, v1, vcc_lo
	v_add_co_ci_u32_e64 v1, null, s11, 0, s8
	s_waitcnt vmcnt(0)
	global_store_b32 v[6:7], v5, off
.LBB22_9:
	s_branch .LBB22_24
.LBB22_10:
	s_min_u32 s8, s1, s16
	s_and_b32 vcc_lo, exec_lo, s3
	s_add_i32 s12, s9, s8
	s_min_u32 s9, s9, s8
	v_subrev_nc_u32_e32 v0, s12, v2
	s_add_i32 s12, s8, s17
	s_delay_alu instid0(SALU_CYCLE_1) | instskip(NEXT) | instid1(VALU_DEP_1)
	s_min_u32 s3, s12, s16
	v_add_nc_u32_e32 v2, s9, v0
	s_cbranch_vccz .LBB22_18
; %bb.11:
                                        ; implicit-def: $vgpr0_vgpr1
	s_and_saveexec_b32 s9, s2
	s_cbranch_execz .LBB22_17
; %bb.12:
	v_mov_b32_e32 v3, s8
	s_cmp_ge_u32 s1, s3
	s_cbranch_scc1 .LBB22_16
; %bb.13:
	s_waitcnt vmcnt(0)
	v_dual_mov_b32 v7, s3 :: v_dual_and_b32 v6, s18, v5
	v_mov_b32_e32 v3, s8
	v_mov_b32_e32 v1, 0
	s_mov_b32 s2, 0
	.p2align	6
.LBB22_14:                              ; =>This Inner Loop Header: Depth=1
	s_delay_alu instid0(VALU_DEP_2) | instskip(NEXT) | instid1(VALU_DEP_1)
	v_add_nc_u32_e32 v0, v3, v7
	v_lshrrev_b32_e32 v0, 1, v0
	s_delay_alu instid0(VALU_DEP_1) | instskip(NEXT) | instid1(VALU_DEP_1)
	v_lshlrev_b64 v[8:9], 2, v[0:1]
	v_add_co_u32 v8, vcc_lo, s4, v8
	s_delay_alu instid0(VALU_DEP_2) | instskip(SKIP_3) | instid1(VALU_DEP_1)
	v_add_co_ci_u32_e32 v9, vcc_lo, s5, v9, vcc_lo
	global_load_b32 v8, v[8:9], off
	s_waitcnt vmcnt(0)
	v_and_b32_e32 v8, s18, v8
	v_cmp_gt_i32_e32 vcc_lo, v6, v8
	v_cndmask_b32_e64 v9, 0, 1, vcc_lo
	v_cmp_le_i32_e32 vcc_lo, v8, v6
	v_cndmask_b32_e64 v8, 0, 1, vcc_lo
	s_delay_alu instid0(VALU_DEP_1) | instskip(SKIP_1) | instid1(VALU_DEP_2)
	v_cndmask_b32_e64 v8, v8, v9, s0
	v_add_nc_u32_e32 v9, 1, v0
	v_and_b32_e32 v8, 1, v8
	s_delay_alu instid0(VALU_DEP_1) | instskip(NEXT) | instid1(VALU_DEP_3)
	v_cmp_eq_u32_e32 vcc_lo, 1, v8
	v_cndmask_b32_e32 v3, v3, v9, vcc_lo
	v_cndmask_b32_e32 v7, v0, v7, vcc_lo
	s_delay_alu instid0(VALU_DEP_1) | instskip(SKIP_1) | instid1(SALU_CYCLE_1)
	v_cmp_ge_u32_e32 vcc_lo, v3, v7
	s_or_b32 s2, vcc_lo, s2
	s_and_not1_b32 exec_lo, exec_lo, s2
	s_cbranch_execnz .LBB22_14
; %bb.15:
	s_or_b32 exec_lo, exec_lo, s2
.LBB22_16:
	s_delay_alu instid0(VALU_DEP_1) | instskip(SKIP_1) | instid1(VALU_DEP_1)
	v_dual_mov_b32 v1, 0 :: v_dual_add_nc_u32 v0, v3, v2
	s_or_b32 s13, s13, exec_lo
	v_lshlrev_b64 v[6:7], 2, v[0:1]
	v_add_co_u32 v0, s2, s10, v0
	s_delay_alu instid0(VALU_DEP_1) | instskip(NEXT) | instid1(VALU_DEP_3)
	v_add_co_ci_u32_e64 v1, null, s11, 0, s2
	v_add_co_u32 v6, vcc_lo, s6, v6
	s_delay_alu instid0(VALU_DEP_4)
	v_add_co_ci_u32_e32 v7, vcc_lo, s7, v7, vcc_lo
	s_waitcnt vmcnt(0)
	global_store_b32 v[6:7], v5, off
.LBB22_17:
	s_or_b32 exec_lo, exec_lo, s9
	s_branch .LBB22_24
.LBB22_18:
                                        ; implicit-def: $vgpr0_vgpr1
	s_cbranch_execz .LBB22_24
; %bb.19:
	v_mov_b32_e32 v3, s8
	s_cmp_ge_u32 s1, s3
	s_cbranch_scc1 .LBB22_23
; %bb.20:
	s_waitcnt vmcnt(0)
	v_dual_mov_b32 v7, s3 :: v_dual_and_b32 v6, s18, v5
	v_mov_b32_e32 v3, s8
	v_mov_b32_e32 v1, 0
	s_mov_b32 s1, 0
	.p2align	6
.LBB22_21:                              ; =>This Inner Loop Header: Depth=1
	s_delay_alu instid0(VALU_DEP_2) | instskip(NEXT) | instid1(VALU_DEP_1)
	v_add_nc_u32_e32 v0, v3, v7
	v_lshrrev_b32_e32 v0, 1, v0
	s_delay_alu instid0(VALU_DEP_1) | instskip(NEXT) | instid1(VALU_DEP_1)
	v_lshlrev_b64 v[8:9], 2, v[0:1]
	v_add_co_u32 v8, vcc_lo, s4, v8
	s_delay_alu instid0(VALU_DEP_2) | instskip(SKIP_3) | instid1(VALU_DEP_1)
	v_add_co_ci_u32_e32 v9, vcc_lo, s5, v9, vcc_lo
	global_load_b32 v8, v[8:9], off
	s_waitcnt vmcnt(0)
	v_and_b32_e32 v8, s18, v8
	v_cmp_gt_i32_e32 vcc_lo, v6, v8
	v_cndmask_b32_e64 v9, 0, 1, vcc_lo
	v_cmp_le_i32_e32 vcc_lo, v8, v6
	v_cndmask_b32_e64 v8, 0, 1, vcc_lo
	s_delay_alu instid0(VALU_DEP_1) | instskip(SKIP_1) | instid1(VALU_DEP_2)
	v_cndmask_b32_e64 v8, v8, v9, s0
	v_add_nc_u32_e32 v9, 1, v0
	v_and_b32_e32 v8, 1, v8
	s_delay_alu instid0(VALU_DEP_1) | instskip(NEXT) | instid1(VALU_DEP_3)
	v_cmp_eq_u32_e32 vcc_lo, 1, v8
	v_cndmask_b32_e32 v3, v3, v9, vcc_lo
	v_cndmask_b32_e32 v7, v0, v7, vcc_lo
	s_delay_alu instid0(VALU_DEP_1) | instskip(SKIP_1) | instid1(SALU_CYCLE_1)
	v_cmp_ge_u32_e32 vcc_lo, v3, v7
	s_or_b32 s1, vcc_lo, s1
	s_and_not1_b32 exec_lo, exec_lo, s1
	s_cbranch_execnz .LBB22_21
; %bb.22:
	s_or_b32 exec_lo, exec_lo, s1
.LBB22_23:
	s_delay_alu instid0(VALU_DEP_1) | instskip(SKIP_1) | instid1(VALU_DEP_1)
	v_dual_mov_b32 v1, 0 :: v_dual_add_nc_u32 v0, v3, v2
	s_mov_b32 s13, -1
	v_lshlrev_b64 v[1:2], 2, v[0:1]
	v_add_co_u32 v0, s0, s10, v0
	s_delay_alu instid0(VALU_DEP_2) | instskip(NEXT) | instid1(VALU_DEP_3)
	v_add_co_u32 v6, vcc_lo, s6, v1
	v_add_co_ci_u32_e32 v7, vcc_lo, s7, v2, vcc_lo
	v_add_co_ci_u32_e64 v1, null, s11, 0, s0
	s_waitcnt vmcnt(0)
	global_store_b32 v[6:7], v5, off
.LBB22_24:
	s_and_b32 exec_lo, exec_lo, s13
	s_cbranch_execz .LBB22_26
; %bb.25:
	s_waitcnt vmcnt(1)
	global_store_b8 v[0:1], v4, off
.LBB22_26:
	s_nop 0
	s_sendmsg sendmsg(MSG_DEALLOC_VGPRS)
	s_endpgm
	.section	.rodata,"a",@progbits
	.p2align	6, 0x0
	.amdhsa_kernel _ZN7rocprim17ROCPRIM_304000_NS6detail33device_block_merge_oddeven_kernelINS1_37wrapped_merge_sort_block_merge_configINS0_14default_configEiN2at4cuda3cub6detail10OpaqueTypeILi1EEEEEPiSC_PSA_SD_jNS1_19radix_merge_compareILb0ELb1EiNS0_19identity_decomposerEEEEEvT0_T1_T2_T3_T4_SL_T5_
		.amdhsa_group_segment_fixed_size 0
		.amdhsa_private_segment_fixed_size 0
		.amdhsa_kernarg_size 44
		.amdhsa_user_sgpr_count 15
		.amdhsa_user_sgpr_dispatch_ptr 0
		.amdhsa_user_sgpr_queue_ptr 0
		.amdhsa_user_sgpr_kernarg_segment_ptr 1
		.amdhsa_user_sgpr_dispatch_id 0
		.amdhsa_user_sgpr_private_segment_size 0
		.amdhsa_wavefront_size32 1
		.amdhsa_uses_dynamic_stack 0
		.amdhsa_enable_private_segment 0
		.amdhsa_system_sgpr_workgroup_id_x 1
		.amdhsa_system_sgpr_workgroup_id_y 0
		.amdhsa_system_sgpr_workgroup_id_z 0
		.amdhsa_system_sgpr_workgroup_info 0
		.amdhsa_system_vgpr_workitem_id 0
		.amdhsa_next_free_vgpr 10
		.amdhsa_next_free_sgpr 20
		.amdhsa_reserve_vcc 1
		.amdhsa_float_round_mode_32 0
		.amdhsa_float_round_mode_16_64 0
		.amdhsa_float_denorm_mode_32 3
		.amdhsa_float_denorm_mode_16_64 3
		.amdhsa_dx10_clamp 1
		.amdhsa_ieee_mode 1
		.amdhsa_fp16_overflow 0
		.amdhsa_workgroup_processor_mode 1
		.amdhsa_memory_ordered 1
		.amdhsa_forward_progress 0
		.amdhsa_shared_vgpr_count 0
		.amdhsa_exception_fp_ieee_invalid_op 0
		.amdhsa_exception_fp_denorm_src 0
		.amdhsa_exception_fp_ieee_div_zero 0
		.amdhsa_exception_fp_ieee_overflow 0
		.amdhsa_exception_fp_ieee_underflow 0
		.amdhsa_exception_fp_ieee_inexact 0
		.amdhsa_exception_int_div_zero 0
	.end_amdhsa_kernel
	.section	.text._ZN7rocprim17ROCPRIM_304000_NS6detail33device_block_merge_oddeven_kernelINS1_37wrapped_merge_sort_block_merge_configINS0_14default_configEiN2at4cuda3cub6detail10OpaqueTypeILi1EEEEEPiSC_PSA_SD_jNS1_19radix_merge_compareILb0ELb1EiNS0_19identity_decomposerEEEEEvT0_T1_T2_T3_T4_SL_T5_,"axG",@progbits,_ZN7rocprim17ROCPRIM_304000_NS6detail33device_block_merge_oddeven_kernelINS1_37wrapped_merge_sort_block_merge_configINS0_14default_configEiN2at4cuda3cub6detail10OpaqueTypeILi1EEEEEPiSC_PSA_SD_jNS1_19radix_merge_compareILb0ELb1EiNS0_19identity_decomposerEEEEEvT0_T1_T2_T3_T4_SL_T5_,comdat
.Lfunc_end22:
	.size	_ZN7rocprim17ROCPRIM_304000_NS6detail33device_block_merge_oddeven_kernelINS1_37wrapped_merge_sort_block_merge_configINS0_14default_configEiN2at4cuda3cub6detail10OpaqueTypeILi1EEEEEPiSC_PSA_SD_jNS1_19radix_merge_compareILb0ELb1EiNS0_19identity_decomposerEEEEEvT0_T1_T2_T3_T4_SL_T5_, .Lfunc_end22-_ZN7rocprim17ROCPRIM_304000_NS6detail33device_block_merge_oddeven_kernelINS1_37wrapped_merge_sort_block_merge_configINS0_14default_configEiN2at4cuda3cub6detail10OpaqueTypeILi1EEEEEPiSC_PSA_SD_jNS1_19radix_merge_compareILb0ELb1EiNS0_19identity_decomposerEEEEEvT0_T1_T2_T3_T4_SL_T5_
                                        ; -- End function
	.section	.AMDGPU.csdata,"",@progbits
; Kernel info:
; codeLenInByte = 972
; NumSgprs: 22
; NumVgprs: 10
; ScratchSize: 0
; MemoryBound: 0
; FloatMode: 240
; IeeeMode: 1
; LDSByteSize: 0 bytes/workgroup (compile time only)
; SGPRBlocks: 2
; VGPRBlocks: 1
; NumSGPRsForWavesPerEU: 22
; NumVGPRsForWavesPerEU: 10
; Occupancy: 16
; WaveLimiterHint : 0
; COMPUTE_PGM_RSRC2:SCRATCH_EN: 0
; COMPUTE_PGM_RSRC2:USER_SGPR: 15
; COMPUTE_PGM_RSRC2:TRAP_HANDLER: 0
; COMPUTE_PGM_RSRC2:TGID_X_EN: 1
; COMPUTE_PGM_RSRC2:TGID_Y_EN: 0
; COMPUTE_PGM_RSRC2:TGID_Z_EN: 0
; COMPUTE_PGM_RSRC2:TIDIG_COMP_CNT: 0
	.section	.text._ZN7rocprim17ROCPRIM_304000_NS6detail26onesweep_histograms_kernelINS1_34wrapped_radix_sort_onesweep_configINS0_14default_configEiN2at4cuda3cub6detail10OpaqueTypeILi1EEEEELb0EPKimNS0_19identity_decomposerEEEvT1_PT2_SG_SG_T3_jj,"axG",@progbits,_ZN7rocprim17ROCPRIM_304000_NS6detail26onesweep_histograms_kernelINS1_34wrapped_radix_sort_onesweep_configINS0_14default_configEiN2at4cuda3cub6detail10OpaqueTypeILi1EEEEELb0EPKimNS0_19identity_decomposerEEEvT1_PT2_SG_SG_T3_jj,comdat
	.protected	_ZN7rocprim17ROCPRIM_304000_NS6detail26onesweep_histograms_kernelINS1_34wrapped_radix_sort_onesweep_configINS0_14default_configEiN2at4cuda3cub6detail10OpaqueTypeILi1EEEEELb0EPKimNS0_19identity_decomposerEEEvT1_PT2_SG_SG_T3_jj ; -- Begin function _ZN7rocprim17ROCPRIM_304000_NS6detail26onesweep_histograms_kernelINS1_34wrapped_radix_sort_onesweep_configINS0_14default_configEiN2at4cuda3cub6detail10OpaqueTypeILi1EEEEELb0EPKimNS0_19identity_decomposerEEEvT1_PT2_SG_SG_T3_jj
	.globl	_ZN7rocprim17ROCPRIM_304000_NS6detail26onesweep_histograms_kernelINS1_34wrapped_radix_sort_onesweep_configINS0_14default_configEiN2at4cuda3cub6detail10OpaqueTypeILi1EEEEELb0EPKimNS0_19identity_decomposerEEEvT1_PT2_SG_SG_T3_jj
	.p2align	8
	.type	_ZN7rocprim17ROCPRIM_304000_NS6detail26onesweep_histograms_kernelINS1_34wrapped_radix_sort_onesweep_configINS0_14default_configEiN2at4cuda3cub6detail10OpaqueTypeILi1EEEEELb0EPKimNS0_19identity_decomposerEEEvT1_PT2_SG_SG_T3_jj,@function
_ZN7rocprim17ROCPRIM_304000_NS6detail26onesweep_histograms_kernelINS1_34wrapped_radix_sort_onesweep_configINS0_14default_configEiN2at4cuda3cub6detail10OpaqueTypeILi1EEEEELb0EPKimNS0_19identity_decomposerEEEvT1_PT2_SG_SG_T3_jj: ; @_ZN7rocprim17ROCPRIM_304000_NS6detail26onesweep_histograms_kernelINS1_34wrapped_radix_sort_onesweep_configINS0_14default_configEiN2at4cuda3cub6detail10OpaqueTypeILi1EEEEELb0EPKimNS0_19identity_decomposerEEEvT1_PT2_SG_SG_T3_jj
; %bb.0:
	s_clause 0x1
	s_load_b256 s[20:27], s[0:1], 0x0
	s_load_b64 s[28:29], s[0:1], 0x24
	s_mov_b32 s2, s15
	s_mov_b32 s3, 0
	s_mul_i32 s1, s15, 0xb000
	v_lshlrev_b32_e32 v3, 2, v0
	s_waitcnt lgkmcnt(0)
	v_cmp_ge_u64_e64 s0, s[2:3], s[26:27]
	s_mul_hi_u32 s2, s15, 0xb000
	s_add_u32 s30, s20, s1
	s_addc_u32 s31, s21, s2
	s_delay_alu instid0(VALU_DEP_1)
	s_and_b32 vcc_lo, exec_lo, s0
	s_mov_b32 s0, -1
	s_cbranch_vccz .LBB23_142
; %bb.1:
	s_mul_i32 s21, s26, 0xffffd400
	v_add_co_u32 v1, s0, s30, v3
	s_add_i32 s21, s21, s24
	v_add_co_ci_u32_e64 v2, null, s31, 0, s0
	v_cmp_gt_u32_e64 s20, s21, v0
                                        ; implicit-def: $vgpr25
	s_delay_alu instid0(VALU_DEP_1)
	s_and_saveexec_b32 s0, s20
	s_cbranch_execz .LBB23_3
; %bb.2:
	global_load_b32 v25, v[1:2], off
.LBB23_3:
	s_or_b32 exec_lo, exec_lo, s0
	v_or_b32_e32 v4, 0x200, v0
                                        ; implicit-def: $vgpr24
	s_delay_alu instid0(VALU_DEP_1) | instskip(NEXT) | instid1(VALU_DEP_1)
	v_cmp_gt_u32_e64 s19, s21, v4
	s_and_saveexec_b32 s0, s19
	s_cbranch_execz .LBB23_5
; %bb.4:
	global_load_b32 v24, v[1:2], off offset:2048
.LBB23_5:
	s_or_b32 exec_lo, exec_lo, s0
	v_or_b32_e32 v4, 0x400, v0
                                        ; implicit-def: $vgpr23
	s_delay_alu instid0(VALU_DEP_1) | instskip(NEXT) | instid1(VALU_DEP_1)
	v_cmp_gt_u32_e64 s18, s21, v4
	s_and_saveexec_b32 s0, s18
	s_cbranch_execz .LBB23_7
; %bb.6:
	v_add_co_u32 v4, vcc_lo, 0x1000, v1
	v_add_co_ci_u32_e32 v5, vcc_lo, 0, v2, vcc_lo
	global_load_b32 v23, v[4:5], off
.LBB23_7:
	s_or_b32 exec_lo, exec_lo, s0
	v_or_b32_e32 v4, 0x600, v0
                                        ; implicit-def: $vgpr22
	s_delay_alu instid0(VALU_DEP_1) | instskip(NEXT) | instid1(VALU_DEP_1)
	v_cmp_gt_u32_e64 s17, s21, v4
	s_and_saveexec_b32 s0, s17
	s_cbranch_execz .LBB23_9
; %bb.8:
	v_add_co_u32 v4, vcc_lo, 0x1000, v1
	v_add_co_ci_u32_e32 v5, vcc_lo, 0, v2, vcc_lo
	global_load_b32 v22, v[4:5], off offset:2048
.LBB23_9:
	s_or_b32 exec_lo, exec_lo, s0
	v_or_b32_e32 v4, 0x800, v0
                                        ; implicit-def: $vgpr21
	s_delay_alu instid0(VALU_DEP_1) | instskip(NEXT) | instid1(VALU_DEP_1)
	v_cmp_gt_u32_e64 s16, s21, v4
	s_and_saveexec_b32 s0, s16
	s_cbranch_execz .LBB23_11
; %bb.10:
	v_add_co_u32 v4, vcc_lo, 0x2000, v1
	v_add_co_ci_u32_e32 v5, vcc_lo, 0, v2, vcc_lo
	global_load_b32 v21, v[4:5], off
.LBB23_11:
	s_or_b32 exec_lo, exec_lo, s0
	v_or_b32_e32 v4, 0xa00, v0
                                        ; implicit-def: $vgpr20
	s_delay_alu instid0(VALU_DEP_1) | instskip(NEXT) | instid1(VALU_DEP_1)
	v_cmp_gt_u32_e64 s15, s21, v4
	s_and_saveexec_b32 s0, s15
	s_cbranch_execz .LBB23_13
; %bb.12:
	v_add_co_u32 v4, vcc_lo, 0x2000, v1
	v_add_co_ci_u32_e32 v5, vcc_lo, 0, v2, vcc_lo
	global_load_b32 v20, v[4:5], off offset:2048
.LBB23_13:
	s_or_b32 exec_lo, exec_lo, s0
	v_or_b32_e32 v26, 0xc00, v0
                                        ; implicit-def: $vgpr19
	s_delay_alu instid0(VALU_DEP_1) | instskip(NEXT) | instid1(VALU_DEP_1)
	v_cmp_gt_u32_e64 s14, s21, v26
	s_and_saveexec_b32 s0, s14
	s_cbranch_execz .LBB23_15
; %bb.14:
	v_add_co_u32 v4, vcc_lo, 0x3000, v1
	v_add_co_ci_u32_e32 v5, vcc_lo, 0, v2, vcc_lo
	global_load_b32 v19, v[4:5], off
.LBB23_15:
	s_or_b32 exec_lo, exec_lo, s0
	v_or_b32_e32 v4, 0xe00, v0
                                        ; implicit-def: $vgpr18
	s_delay_alu instid0(VALU_DEP_1) | instskip(NEXT) | instid1(VALU_DEP_1)
	v_cmp_gt_u32_e64 s13, s21, v4
	s_and_saveexec_b32 s0, s13
	s_cbranch_execz .LBB23_17
; %bb.16:
	v_add_co_u32 v4, vcc_lo, 0x3000, v1
	v_add_co_ci_u32_e32 v5, vcc_lo, 0, v2, vcc_lo
	global_load_b32 v18, v[4:5], off offset:2048
.LBB23_17:
	s_or_b32 exec_lo, exec_lo, s0
	v_or_b32_e32 v4, 0x1000, v0
                                        ; implicit-def: $vgpr17
	s_delay_alu instid0(VALU_DEP_1) | instskip(NEXT) | instid1(VALU_DEP_1)
	v_cmp_gt_u32_e64 s12, s21, v4
	s_and_saveexec_b32 s0, s12
	s_cbranch_execz .LBB23_19
; %bb.18:
	v_add_co_u32 v4, vcc_lo, 0x4000, v1
	v_add_co_ci_u32_e32 v5, vcc_lo, 0, v2, vcc_lo
	global_load_b32 v17, v[4:5], off
.LBB23_19:
	s_or_b32 exec_lo, exec_lo, s0
	v_or_b32_e32 v4, 0x1200, v0
                                        ; implicit-def: $vgpr16
	s_delay_alu instid0(VALU_DEP_1) | instskip(NEXT) | instid1(VALU_DEP_1)
	v_cmp_gt_u32_e64 s11, s21, v4
	s_and_saveexec_b32 s0, s11
	s_cbranch_execz .LBB23_21
; %bb.20:
	v_add_co_u32 v4, vcc_lo, 0x4000, v1
	v_add_co_ci_u32_e32 v5, vcc_lo, 0, v2, vcc_lo
	global_load_b32 v16, v[4:5], off offset:2048
.LBB23_21:
	s_or_b32 exec_lo, exec_lo, s0
	v_or_b32_e32 v4, 0x1400, v0
                                        ; implicit-def: $vgpr15
	s_delay_alu instid0(VALU_DEP_1) | instskip(NEXT) | instid1(VALU_DEP_1)
	v_cmp_gt_u32_e64 s10, s21, v4
	s_and_saveexec_b32 s0, s10
	s_cbranch_execz .LBB23_23
; %bb.22:
	v_add_co_u32 v4, vcc_lo, 0x5000, v1
	v_add_co_ci_u32_e32 v5, vcc_lo, 0, v2, vcc_lo
	global_load_b32 v15, v[4:5], off
.LBB23_23:
	s_or_b32 exec_lo, exec_lo, s0
	v_or_b32_e32 v4, 0x1600, v0
                                        ; implicit-def: $vgpr14
	s_delay_alu instid0(VALU_DEP_1) | instskip(NEXT) | instid1(VALU_DEP_1)
	v_cmp_gt_u32_e64 s9, s21, v4
	s_and_saveexec_b32 s0, s9
	s_cbranch_execz .LBB23_25
; %bb.24:
	v_add_co_u32 v4, vcc_lo, 0x5000, v1
	v_add_co_ci_u32_e32 v5, vcc_lo, 0, v2, vcc_lo
	global_load_b32 v14, v[4:5], off offset:2048
.LBB23_25:
	s_or_b32 exec_lo, exec_lo, s0
	v_or_b32_e32 v4, 0x1800, v0
                                        ; implicit-def: $vgpr13
	s_delay_alu instid0(VALU_DEP_1) | instskip(NEXT) | instid1(VALU_DEP_1)
	v_cmp_gt_u32_e64 s8, s21, v4
	s_and_saveexec_b32 s0, s8
	s_cbranch_execz .LBB23_27
; %bb.26:
	v_add_co_u32 v4, vcc_lo, 0x6000, v1
	v_add_co_ci_u32_e32 v5, vcc_lo, 0, v2, vcc_lo
	global_load_b32 v13, v[4:5], off
.LBB23_27:
	s_or_b32 exec_lo, exec_lo, s0
	v_or_b32_e32 v4, 0x1a00, v0
                                        ; implicit-def: $vgpr12
	s_delay_alu instid0(VALU_DEP_1) | instskip(NEXT) | instid1(VALU_DEP_1)
	v_cmp_gt_u32_e64 s7, s21, v4
	s_and_saveexec_b32 s0, s7
	s_cbranch_execz .LBB23_29
; %bb.28:
	v_add_co_u32 v4, vcc_lo, 0x6000, v1
	v_add_co_ci_u32_e32 v5, vcc_lo, 0, v2, vcc_lo
	global_load_b32 v12, v[4:5], off offset:2048
.LBB23_29:
	s_or_b32 exec_lo, exec_lo, s0
	v_or_b32_e32 v4, 0x1c00, v0
                                        ; implicit-def: $vgpr11
	s_delay_alu instid0(VALU_DEP_1) | instskip(NEXT) | instid1(VALU_DEP_1)
	v_cmp_gt_u32_e64 s6, s21, v4
	s_and_saveexec_b32 s0, s6
	s_cbranch_execz .LBB23_31
; %bb.30:
	v_add_co_u32 v4, vcc_lo, 0x7000, v1
	v_add_co_ci_u32_e32 v5, vcc_lo, 0, v2, vcc_lo
	global_load_b32 v11, v[4:5], off
.LBB23_31:
	s_or_b32 exec_lo, exec_lo, s0
	v_or_b32_e32 v4, 0x1e00, v0
                                        ; implicit-def: $vgpr10
	s_delay_alu instid0(VALU_DEP_1) | instskip(NEXT) | instid1(VALU_DEP_1)
	v_cmp_gt_u32_e64 s5, s21, v4
	s_and_saveexec_b32 s0, s5
	s_cbranch_execz .LBB23_33
; %bb.32:
	v_add_co_u32 v4, vcc_lo, 0x7000, v1
	v_add_co_ci_u32_e32 v5, vcc_lo, 0, v2, vcc_lo
	global_load_b32 v10, v[4:5], off offset:2048
.LBB23_33:
	s_or_b32 exec_lo, exec_lo, s0
	v_or_b32_e32 v4, 0x2000, v0
                                        ; implicit-def: $vgpr9
	s_delay_alu instid0(VALU_DEP_1) | instskip(NEXT) | instid1(VALU_DEP_1)
	v_cmp_gt_u32_e64 s4, s21, v4
	s_and_saveexec_b32 s0, s4
	s_cbranch_execz .LBB23_35
; %bb.34:
	v_add_co_u32 v4, vcc_lo, 0x8000, v1
	v_add_co_ci_u32_e32 v5, vcc_lo, 0, v2, vcc_lo
	global_load_b32 v9, v[4:5], off
.LBB23_35:
	s_or_b32 exec_lo, exec_lo, s0
	v_or_b32_e32 v4, 0x2200, v0
                                        ; implicit-def: $vgpr8
	s_delay_alu instid0(VALU_DEP_1) | instskip(NEXT) | instid1(VALU_DEP_1)
	v_cmp_gt_u32_e64 s3, s21, v4
	s_and_saveexec_b32 s0, s3
	s_cbranch_execz .LBB23_37
; %bb.36:
	v_add_co_u32 v4, vcc_lo, 0x8000, v1
	v_add_co_ci_u32_e32 v5, vcc_lo, 0, v2, vcc_lo
	global_load_b32 v8, v[4:5], off offset:2048
.LBB23_37:
	s_or_b32 exec_lo, exec_lo, s0
	v_or_b32_e32 v4, 0x2400, v0
                                        ; implicit-def: $vgpr7
	s_delay_alu instid0(VALU_DEP_1) | instskip(NEXT) | instid1(VALU_DEP_1)
	v_cmp_gt_u32_e64 s2, s21, v4
	s_and_saveexec_b32 s0, s2
	s_cbranch_execz .LBB23_39
; %bb.38:
	v_add_co_u32 v4, vcc_lo, 0x9000, v1
	v_add_co_ci_u32_e32 v5, vcc_lo, 0, v2, vcc_lo
	global_load_b32 v7, v[4:5], off
.LBB23_39:
	s_or_b32 exec_lo, exec_lo, s0
	v_or_b32_e32 v4, 0x2600, v0
                                        ; implicit-def: $vgpr6
	s_delay_alu instid0(VALU_DEP_1) | instskip(NEXT) | instid1(VALU_DEP_1)
	v_cmp_gt_u32_e64 s1, s21, v4
	s_and_saveexec_b32 s0, s1
	s_cbranch_execz .LBB23_41
; %bb.40:
	v_add_co_u32 v4, vcc_lo, 0x9000, v1
	v_add_co_ci_u32_e32 v5, vcc_lo, 0, v2, vcc_lo
	global_load_b32 v6, v[4:5], off offset:2048
.LBB23_41:
	s_or_b32 exec_lo, exec_lo, s0
	v_or_b32_e32 v4, 0x2800, v0
                                        ; implicit-def: $vgpr5
	s_delay_alu instid0(VALU_DEP_1) | instskip(NEXT) | instid1(VALU_DEP_1)
	v_cmp_gt_u32_e64 s0, s21, v4
	s_and_saveexec_b32 s24, s0
	s_cbranch_execz .LBB23_43
; %bb.42:
	v_add_co_u32 v4, vcc_lo, 0xa000, v1
	v_add_co_ci_u32_e32 v5, vcc_lo, 0, v2, vcc_lo
	global_load_b32 v4, v[4:5], off
	s_waitcnt vmcnt(0)
	v_xor_b32_e32 v5, 0x80000000, v4
.LBB23_43:
	s_or_b32 exec_lo, exec_lo, s24
	v_or_b32_e32 v4, 0x2a00, v0
	s_delay_alu instid0(VALU_DEP_1)
	v_cmp_gt_u32_e32 vcc_lo, s21, v4
                                        ; implicit-def: $vgpr4
	s_and_saveexec_b32 s24, vcc_lo
	s_cbranch_execz .LBB23_45
; %bb.44:
	v_add_co_u32 v1, s21, 0xa000, v1
	s_delay_alu instid0(VALU_DEP_1)
	v_add_co_ci_u32_e64 v2, s21, 0, v2, s21
	global_load_b32 v1, v[1:2], off offset:2048
	s_waitcnt vmcnt(0)
	v_xor_b32_e32 v4, 0x80000000, v1
.LBB23_45:
	s_or_b32 exec_lo, exec_lo, s24
	v_mov_b32_e32 v1, 0
	s_mov_b32 s24, exec_lo
	ds_store_2addr_stride64_b32 v3, v1, v1 offset1:8
	ds_store_2addr_stride64_b32 v3, v1, v1 offset0:16 offset1:24
	ds_store_2addr_stride64_b32 v3, v1, v1 offset0:32 offset1:40
	ds_store_b32 v3, v1 offset:12288
	v_cmpx_gt_u32_e32 0xe00, v26
	s_cbranch_execz .LBB23_47
; %bb.46:
	ds_store_b32 v3, v1 offset:14336
.LBB23_47:
	s_or_b32 exec_lo, exec_lo, s24
	s_cmp_gt_u32 s29, s28
	s_waitcnt vmcnt(0) lgkmcnt(0)
	s_cselect_b32 s21, -1, 0
	s_cmp_le_u32 s29, s28
	s_barrier
	buffer_gl0_inv
	s_cbranch_scc1 .LBB23_136
; %bb.48:
	v_and_b32_e32 v1, 3, v0
	v_xor_b32_e32 v2, 0x80000000, v25
	s_sub_i32 s24, s29, s28
	s_mov_b32 s26, s28
	s_mov_b32 s25, s24
	v_lshlrev_b32_e32 v1, 2, v1
	s_delay_alu instid0(VALU_DEP_1)
	v_dual_mov_b32 v25, 1 :: v_dual_mov_b32 v26, v1
	s_branch .LBB23_50
	.p2align	6
.LBB23_49:                              ;   in Loop: Header=BB23_50 Depth=1
	s_or_b32 exec_lo, exec_lo, s27
	v_add_nc_u32_e32 v26, 0x1000, v26
	s_add_i32 s26, s26, 8
	s_add_i32 s25, s25, -8
	s_cmp_lt_u32 s26, s29
	s_cbranch_scc0 .LBB23_52
.LBB23_50:                              ; =>This Inner Loop Header: Depth=1
	s_and_saveexec_b32 s27, s20
	s_cbranch_execz .LBB23_49
; %bb.51:                               ;   in Loop: Header=BB23_50 Depth=1
	v_lshrrev_b32_e32 v27, s26, v2
	s_min_u32 s33, s25, 8
	s_delay_alu instid0(VALU_DEP_1) | instid1(SALU_CYCLE_1)
	v_bfe_u32 v27, v27, 0, s33
	s_delay_alu instid0(VALU_DEP_1)
	v_lshl_add_u32 v27, v27, 4, v26
	ds_add_u32 v27, v25
	s_branch .LBB23_49
.LBB23_52:
	v_xor_b32_e32 v2, 0x80000000, v24
	v_dual_mov_b32 v24, 1 :: v_dual_mov_b32 v25, v1
	s_mov_b32 s20, s24
	s_mov_b32 s25, s28
	s_branch .LBB23_54
	.p2align	6
.LBB23_53:                              ;   in Loop: Header=BB23_54 Depth=1
	s_or_b32 exec_lo, exec_lo, s26
	v_add_nc_u32_e32 v25, 0x1000, v25
	s_add_i32 s25, s25, 8
	s_add_i32 s20, s20, -8
	s_cmp_lt_u32 s25, s29
	s_cbranch_scc0 .LBB23_56
.LBB23_54:                              ; =>This Inner Loop Header: Depth=1
	s_and_saveexec_b32 s26, s19
	s_cbranch_execz .LBB23_53
; %bb.55:                               ;   in Loop: Header=BB23_54 Depth=1
	v_lshrrev_b32_e32 v26, s25, v2
	s_min_u32 s27, s20, 8
	s_delay_alu instid0(VALU_DEP_1) | instid1(SALU_CYCLE_1)
	v_bfe_u32 v26, v26, 0, s27
	s_delay_alu instid0(VALU_DEP_1)
	v_lshl_add_u32 v26, v26, 4, v25
	ds_add_u32 v26, v24
	s_branch .LBB23_53
.LBB23_56:
	v_xor_b32_e32 v2, 0x80000000, v23
	v_dual_mov_b32 v23, 1 :: v_dual_mov_b32 v24, v1
	s_mov_b32 s19, s24
	s_mov_b32 s20, s28
	s_branch .LBB23_58
	.p2align	6
.LBB23_57:                              ;   in Loop: Header=BB23_58 Depth=1
	s_or_b32 exec_lo, exec_lo, s25
	v_add_nc_u32_e32 v24, 0x1000, v24
	s_add_i32 s20, s20, 8
	s_add_i32 s19, s19, -8
	s_cmp_lt_u32 s20, s29
	s_cbranch_scc0 .LBB23_60
.LBB23_58:                              ; =>This Inner Loop Header: Depth=1
	s_and_saveexec_b32 s25, s18
	s_cbranch_execz .LBB23_57
; %bb.59:                               ;   in Loop: Header=BB23_58 Depth=1
	v_lshrrev_b32_e32 v25, s20, v2
	s_min_u32 s26, s19, 8
	s_delay_alu instid0(VALU_DEP_1) | instid1(SALU_CYCLE_1)
	v_bfe_u32 v25, v25, 0, s26
	s_delay_alu instid0(VALU_DEP_1)
	v_lshl_add_u32 v25, v25, 4, v24
	ds_add_u32 v25, v23
	s_branch .LBB23_57
.LBB23_60:
	v_xor_b32_e32 v2, 0x80000000, v22
	v_dual_mov_b32 v22, 1 :: v_dual_mov_b32 v23, v1
	s_mov_b32 s18, s24
	s_mov_b32 s19, s28
	s_branch .LBB23_62
	.p2align	6
.LBB23_61:                              ;   in Loop: Header=BB23_62 Depth=1
	s_or_b32 exec_lo, exec_lo, s20
	v_add_nc_u32_e32 v23, 0x1000, v23
	s_add_i32 s19, s19, 8
	s_add_i32 s18, s18, -8
	s_cmp_lt_u32 s19, s29
	s_cbranch_scc0 .LBB23_64
.LBB23_62:                              ; =>This Inner Loop Header: Depth=1
	s_and_saveexec_b32 s20, s17
	s_cbranch_execz .LBB23_61
; %bb.63:                               ;   in Loop: Header=BB23_62 Depth=1
	v_lshrrev_b32_e32 v24, s19, v2
	s_min_u32 s25, s18, 8
	s_delay_alu instid0(VALU_DEP_1) | instid1(SALU_CYCLE_1)
	v_bfe_u32 v24, v24, 0, s25
	s_delay_alu instid0(VALU_DEP_1)
	v_lshl_add_u32 v24, v24, 4, v23
	ds_add_u32 v24, v22
	s_branch .LBB23_61
.LBB23_64:
	v_xor_b32_e32 v2, 0x80000000, v21
	v_dual_mov_b32 v21, 1 :: v_dual_mov_b32 v22, v1
	s_mov_b32 s17, s24
	s_mov_b32 s18, s28
	s_branch .LBB23_66
	.p2align	6
.LBB23_65:                              ;   in Loop: Header=BB23_66 Depth=1
	s_or_b32 exec_lo, exec_lo, s19
	v_add_nc_u32_e32 v22, 0x1000, v22
	s_add_i32 s18, s18, 8
	s_add_i32 s17, s17, -8
	s_cmp_lt_u32 s18, s29
	s_cbranch_scc0 .LBB23_68
.LBB23_66:                              ; =>This Inner Loop Header: Depth=1
	s_and_saveexec_b32 s19, s16
	s_cbranch_execz .LBB23_65
; %bb.67:                               ;   in Loop: Header=BB23_66 Depth=1
	v_lshrrev_b32_e32 v23, s18, v2
	s_min_u32 s20, s17, 8
	s_delay_alu instid0(VALU_DEP_1) | instid1(SALU_CYCLE_1)
	v_bfe_u32 v23, v23, 0, s20
	s_delay_alu instid0(VALU_DEP_1)
	v_lshl_add_u32 v23, v23, 4, v22
	ds_add_u32 v23, v21
	s_branch .LBB23_65
.LBB23_68:
	v_xor_b32_e32 v2, 0x80000000, v20
	v_dual_mov_b32 v20, 1 :: v_dual_mov_b32 v21, v1
	s_mov_b32 s16, s24
	s_mov_b32 s17, s28
	s_branch .LBB23_70
	.p2align	6
.LBB23_69:                              ;   in Loop: Header=BB23_70 Depth=1
	s_or_b32 exec_lo, exec_lo, s18
	v_add_nc_u32_e32 v21, 0x1000, v21
	s_add_i32 s17, s17, 8
	s_add_i32 s16, s16, -8
	s_cmp_lt_u32 s17, s29
	s_cbranch_scc0 .LBB23_72
.LBB23_70:                              ; =>This Inner Loop Header: Depth=1
	s_and_saveexec_b32 s18, s15
	s_cbranch_execz .LBB23_69
; %bb.71:                               ;   in Loop: Header=BB23_70 Depth=1
	v_lshrrev_b32_e32 v22, s17, v2
	s_min_u32 s19, s16, 8
	s_delay_alu instid0(VALU_DEP_1) | instid1(SALU_CYCLE_1)
	v_bfe_u32 v22, v22, 0, s19
	s_delay_alu instid0(VALU_DEP_1)
	v_lshl_add_u32 v22, v22, 4, v21
	ds_add_u32 v22, v20
	s_branch .LBB23_69
.LBB23_72:
	v_xor_b32_e32 v2, 0x80000000, v19
	v_dual_mov_b32 v19, 1 :: v_dual_mov_b32 v20, v1
	s_mov_b32 s15, s24
	s_mov_b32 s16, s28
	s_branch .LBB23_74
	.p2align	6
.LBB23_73:                              ;   in Loop: Header=BB23_74 Depth=1
	s_or_b32 exec_lo, exec_lo, s17
	v_add_nc_u32_e32 v20, 0x1000, v20
	s_add_i32 s16, s16, 8
	s_add_i32 s15, s15, -8
	s_cmp_lt_u32 s16, s29
	s_cbranch_scc0 .LBB23_76
.LBB23_74:                              ; =>This Inner Loop Header: Depth=1
	s_and_saveexec_b32 s17, s14
	s_cbranch_execz .LBB23_73
; %bb.75:                               ;   in Loop: Header=BB23_74 Depth=1
	v_lshrrev_b32_e32 v21, s16, v2
	s_min_u32 s18, s15, 8
	s_delay_alu instid0(VALU_DEP_1) | instid1(SALU_CYCLE_1)
	v_bfe_u32 v21, v21, 0, s18
	s_delay_alu instid0(VALU_DEP_1)
	v_lshl_add_u32 v21, v21, 4, v20
	ds_add_u32 v21, v19
	s_branch .LBB23_73
.LBB23_76:
	v_xor_b32_e32 v2, 0x80000000, v18
	v_dual_mov_b32 v18, 1 :: v_dual_mov_b32 v19, v1
	s_mov_b32 s14, s24
	s_mov_b32 s15, s28
	s_branch .LBB23_78
	.p2align	6
.LBB23_77:                              ;   in Loop: Header=BB23_78 Depth=1
	s_or_b32 exec_lo, exec_lo, s16
	v_add_nc_u32_e32 v19, 0x1000, v19
	s_add_i32 s15, s15, 8
	s_add_i32 s14, s14, -8
	s_cmp_lt_u32 s15, s29
	s_cbranch_scc0 .LBB23_80
.LBB23_78:                              ; =>This Inner Loop Header: Depth=1
	s_and_saveexec_b32 s16, s13
	s_cbranch_execz .LBB23_77
; %bb.79:                               ;   in Loop: Header=BB23_78 Depth=1
	v_lshrrev_b32_e32 v20, s15, v2
	s_min_u32 s17, s14, 8
	s_delay_alu instid0(VALU_DEP_1) | instid1(SALU_CYCLE_1)
	v_bfe_u32 v20, v20, 0, s17
	s_delay_alu instid0(VALU_DEP_1)
	v_lshl_add_u32 v20, v20, 4, v19
	ds_add_u32 v20, v18
	s_branch .LBB23_77
.LBB23_80:
	v_xor_b32_e32 v2, 0x80000000, v17
	v_dual_mov_b32 v17, 1 :: v_dual_mov_b32 v18, v1
	s_mov_b32 s13, s24
	s_mov_b32 s14, s28
	s_branch .LBB23_82
	.p2align	6
.LBB23_81:                              ;   in Loop: Header=BB23_82 Depth=1
	s_or_b32 exec_lo, exec_lo, s15
	v_add_nc_u32_e32 v18, 0x1000, v18
	s_add_i32 s14, s14, 8
	s_add_i32 s13, s13, -8
	s_cmp_lt_u32 s14, s29
	s_cbranch_scc0 .LBB23_84
.LBB23_82:                              ; =>This Inner Loop Header: Depth=1
	s_and_saveexec_b32 s15, s12
	s_cbranch_execz .LBB23_81
; %bb.83:                               ;   in Loop: Header=BB23_82 Depth=1
	v_lshrrev_b32_e32 v19, s14, v2
	s_min_u32 s16, s13, 8
	s_delay_alu instid0(VALU_DEP_1) | instid1(SALU_CYCLE_1)
	v_bfe_u32 v19, v19, 0, s16
	s_delay_alu instid0(VALU_DEP_1)
	v_lshl_add_u32 v19, v19, 4, v18
	ds_add_u32 v19, v17
	s_branch .LBB23_81
.LBB23_84:
	v_xor_b32_e32 v2, 0x80000000, v16
	v_dual_mov_b32 v16, 1 :: v_dual_mov_b32 v17, v1
	s_mov_b32 s12, s24
	s_mov_b32 s13, s28
	s_branch .LBB23_86
	.p2align	6
.LBB23_85:                              ;   in Loop: Header=BB23_86 Depth=1
	s_or_b32 exec_lo, exec_lo, s14
	v_add_nc_u32_e32 v17, 0x1000, v17
	s_add_i32 s13, s13, 8
	s_add_i32 s12, s12, -8
	s_cmp_lt_u32 s13, s29
	s_cbranch_scc0 .LBB23_88
.LBB23_86:                              ; =>This Inner Loop Header: Depth=1
	s_and_saveexec_b32 s14, s11
	s_cbranch_execz .LBB23_85
; %bb.87:                               ;   in Loop: Header=BB23_86 Depth=1
	v_lshrrev_b32_e32 v18, s13, v2
	s_min_u32 s15, s12, 8
	s_delay_alu instid0(VALU_DEP_1) | instid1(SALU_CYCLE_1)
	v_bfe_u32 v18, v18, 0, s15
	s_delay_alu instid0(VALU_DEP_1)
	v_lshl_add_u32 v18, v18, 4, v17
	ds_add_u32 v18, v16
	s_branch .LBB23_85
.LBB23_88:
	v_xor_b32_e32 v2, 0x80000000, v15
	v_dual_mov_b32 v15, 1 :: v_dual_mov_b32 v16, v1
	s_mov_b32 s11, s24
	s_mov_b32 s12, s28
	s_branch .LBB23_90
	.p2align	6
.LBB23_89:                              ;   in Loop: Header=BB23_90 Depth=1
	s_or_b32 exec_lo, exec_lo, s13
	v_add_nc_u32_e32 v16, 0x1000, v16
	s_add_i32 s12, s12, 8
	s_add_i32 s11, s11, -8
	s_cmp_lt_u32 s12, s29
	s_cbranch_scc0 .LBB23_92
.LBB23_90:                              ; =>This Inner Loop Header: Depth=1
	s_and_saveexec_b32 s13, s10
	s_cbranch_execz .LBB23_89
; %bb.91:                               ;   in Loop: Header=BB23_90 Depth=1
	v_lshrrev_b32_e32 v17, s12, v2
	s_min_u32 s14, s11, 8
	s_delay_alu instid0(VALU_DEP_1) | instid1(SALU_CYCLE_1)
	v_bfe_u32 v17, v17, 0, s14
	s_delay_alu instid0(VALU_DEP_1)
	v_lshl_add_u32 v17, v17, 4, v16
	ds_add_u32 v17, v15
	s_branch .LBB23_89
.LBB23_92:
	v_xor_b32_e32 v2, 0x80000000, v14
	v_dual_mov_b32 v14, 1 :: v_dual_mov_b32 v15, v1
	s_mov_b32 s10, s24
	s_mov_b32 s11, s28
	s_branch .LBB23_94
	.p2align	6
.LBB23_93:                              ;   in Loop: Header=BB23_94 Depth=1
	s_or_b32 exec_lo, exec_lo, s12
	v_add_nc_u32_e32 v15, 0x1000, v15
	s_add_i32 s11, s11, 8
	s_add_i32 s10, s10, -8
	s_cmp_lt_u32 s11, s29
	s_cbranch_scc0 .LBB23_96
.LBB23_94:                              ; =>This Inner Loop Header: Depth=1
	s_and_saveexec_b32 s12, s9
	s_cbranch_execz .LBB23_93
; %bb.95:                               ;   in Loop: Header=BB23_94 Depth=1
	v_lshrrev_b32_e32 v16, s11, v2
	s_min_u32 s13, s10, 8
	s_delay_alu instid0(VALU_DEP_1) | instid1(SALU_CYCLE_1)
	v_bfe_u32 v16, v16, 0, s13
	s_delay_alu instid0(VALU_DEP_1)
	v_lshl_add_u32 v16, v16, 4, v15
	ds_add_u32 v16, v14
	s_branch .LBB23_93
.LBB23_96:
	v_xor_b32_e32 v2, 0x80000000, v13
	v_dual_mov_b32 v13, 1 :: v_dual_mov_b32 v14, v1
	s_mov_b32 s9, s24
	s_mov_b32 s10, s28
	s_branch .LBB23_98
	.p2align	6
.LBB23_97:                              ;   in Loop: Header=BB23_98 Depth=1
	s_or_b32 exec_lo, exec_lo, s11
	v_add_nc_u32_e32 v14, 0x1000, v14
	s_add_i32 s10, s10, 8
	s_add_i32 s9, s9, -8
	s_cmp_lt_u32 s10, s29
	s_cbranch_scc0 .LBB23_100
.LBB23_98:                              ; =>This Inner Loop Header: Depth=1
	s_and_saveexec_b32 s11, s8
	s_cbranch_execz .LBB23_97
; %bb.99:                               ;   in Loop: Header=BB23_98 Depth=1
	v_lshrrev_b32_e32 v15, s10, v2
	s_min_u32 s12, s9, 8
	s_delay_alu instid0(VALU_DEP_1) | instid1(SALU_CYCLE_1)
	v_bfe_u32 v15, v15, 0, s12
	s_delay_alu instid0(VALU_DEP_1)
	v_lshl_add_u32 v15, v15, 4, v14
	ds_add_u32 v15, v13
	s_branch .LBB23_97
.LBB23_100:
	v_xor_b32_e32 v2, 0x80000000, v12
	v_dual_mov_b32 v12, 1 :: v_dual_mov_b32 v13, v1
	s_mov_b32 s8, s24
	s_mov_b32 s9, s28
	s_branch .LBB23_102
	.p2align	6
.LBB23_101:                             ;   in Loop: Header=BB23_102 Depth=1
	s_or_b32 exec_lo, exec_lo, s10
	v_add_nc_u32_e32 v13, 0x1000, v13
	s_add_i32 s9, s9, 8
	s_add_i32 s8, s8, -8
	s_cmp_lt_u32 s9, s29
	s_cbranch_scc0 .LBB23_104
.LBB23_102:                             ; =>This Inner Loop Header: Depth=1
	s_and_saveexec_b32 s10, s7
	s_cbranch_execz .LBB23_101
; %bb.103:                              ;   in Loop: Header=BB23_102 Depth=1
	v_lshrrev_b32_e32 v14, s9, v2
	s_min_u32 s11, s8, 8
	s_delay_alu instid0(VALU_DEP_1) | instid1(SALU_CYCLE_1)
	v_bfe_u32 v14, v14, 0, s11
	s_delay_alu instid0(VALU_DEP_1)
	v_lshl_add_u32 v14, v14, 4, v13
	ds_add_u32 v14, v12
	s_branch .LBB23_101
.LBB23_104:
	v_xor_b32_e32 v2, 0x80000000, v11
	v_dual_mov_b32 v11, 1 :: v_dual_mov_b32 v12, v1
	s_mov_b32 s7, s24
	s_mov_b32 s8, s28
	s_branch .LBB23_106
	.p2align	6
.LBB23_105:                             ;   in Loop: Header=BB23_106 Depth=1
	s_or_b32 exec_lo, exec_lo, s9
	v_add_nc_u32_e32 v12, 0x1000, v12
	s_add_i32 s8, s8, 8
	s_add_i32 s7, s7, -8
	s_cmp_lt_u32 s8, s29
	s_cbranch_scc0 .LBB23_108
.LBB23_106:                             ; =>This Inner Loop Header: Depth=1
	s_and_saveexec_b32 s9, s6
	s_cbranch_execz .LBB23_105
; %bb.107:                              ;   in Loop: Header=BB23_106 Depth=1
	v_lshrrev_b32_e32 v13, s8, v2
	s_min_u32 s10, s7, 8
	s_delay_alu instid0(VALU_DEP_1) | instid1(SALU_CYCLE_1)
	v_bfe_u32 v13, v13, 0, s10
	s_delay_alu instid0(VALU_DEP_1)
	v_lshl_add_u32 v13, v13, 4, v12
	ds_add_u32 v13, v11
	s_branch .LBB23_105
.LBB23_108:
	v_xor_b32_e32 v2, 0x80000000, v10
	v_dual_mov_b32 v10, 1 :: v_dual_mov_b32 v11, v1
	s_mov_b32 s6, s24
	s_mov_b32 s7, s28
	s_branch .LBB23_110
	.p2align	6
.LBB23_109:                             ;   in Loop: Header=BB23_110 Depth=1
	s_or_b32 exec_lo, exec_lo, s8
	v_add_nc_u32_e32 v11, 0x1000, v11
	s_add_i32 s7, s7, 8
	s_add_i32 s6, s6, -8
	s_cmp_lt_u32 s7, s29
	s_cbranch_scc0 .LBB23_112
.LBB23_110:                             ; =>This Inner Loop Header: Depth=1
	s_and_saveexec_b32 s8, s5
	s_cbranch_execz .LBB23_109
; %bb.111:                              ;   in Loop: Header=BB23_110 Depth=1
	v_lshrrev_b32_e32 v12, s7, v2
	s_min_u32 s9, s6, 8
	s_delay_alu instid0(VALU_DEP_1) | instid1(SALU_CYCLE_1)
	v_bfe_u32 v12, v12, 0, s9
	s_delay_alu instid0(VALU_DEP_1)
	v_lshl_add_u32 v12, v12, 4, v11
	ds_add_u32 v12, v10
	s_branch .LBB23_109
.LBB23_112:
	v_xor_b32_e32 v2, 0x80000000, v9
	v_dual_mov_b32 v9, 1 :: v_dual_mov_b32 v10, v1
	s_mov_b32 s5, s24
	s_mov_b32 s6, s28
	s_branch .LBB23_114
	.p2align	6
.LBB23_113:                             ;   in Loop: Header=BB23_114 Depth=1
	s_or_b32 exec_lo, exec_lo, s7
	v_add_nc_u32_e32 v10, 0x1000, v10
	s_add_i32 s6, s6, 8
	s_add_i32 s5, s5, -8
	s_cmp_lt_u32 s6, s29
	s_cbranch_scc0 .LBB23_116
.LBB23_114:                             ; =>This Inner Loop Header: Depth=1
	s_and_saveexec_b32 s7, s4
	s_cbranch_execz .LBB23_113
; %bb.115:                              ;   in Loop: Header=BB23_114 Depth=1
	v_lshrrev_b32_e32 v11, s6, v2
	s_min_u32 s8, s5, 8
	s_delay_alu instid0(VALU_DEP_1) | instid1(SALU_CYCLE_1)
	v_bfe_u32 v11, v11, 0, s8
	s_delay_alu instid0(VALU_DEP_1)
	v_lshl_add_u32 v11, v11, 4, v10
	ds_add_u32 v11, v9
	s_branch .LBB23_113
.LBB23_116:
	v_xor_b32_e32 v2, 0x80000000, v8
	v_dual_mov_b32 v8, 1 :: v_dual_mov_b32 v9, v1
	s_mov_b32 s4, s24
	s_mov_b32 s5, s28
	s_branch .LBB23_118
	.p2align	6
.LBB23_117:                             ;   in Loop: Header=BB23_118 Depth=1
	s_or_b32 exec_lo, exec_lo, s6
	v_add_nc_u32_e32 v9, 0x1000, v9
	s_add_i32 s5, s5, 8
	s_add_i32 s4, s4, -8
	s_cmp_lt_u32 s5, s29
	s_cbranch_scc0 .LBB23_120
.LBB23_118:                             ; =>This Inner Loop Header: Depth=1
	s_and_saveexec_b32 s6, s3
	s_cbranch_execz .LBB23_117
; %bb.119:                              ;   in Loop: Header=BB23_118 Depth=1
	v_lshrrev_b32_e32 v10, s5, v2
	s_min_u32 s7, s4, 8
	s_delay_alu instid0(VALU_DEP_1) | instid1(SALU_CYCLE_1)
	v_bfe_u32 v10, v10, 0, s7
	s_delay_alu instid0(VALU_DEP_1)
	v_lshl_add_u32 v10, v10, 4, v9
	ds_add_u32 v10, v8
	s_branch .LBB23_117
.LBB23_120:
	v_xor_b32_e32 v2, 0x80000000, v7
	v_dual_mov_b32 v7, 1 :: v_dual_mov_b32 v8, v1
	s_mov_b32 s3, s24
	s_mov_b32 s4, s28
	s_branch .LBB23_122
	.p2align	6
.LBB23_121:                             ;   in Loop: Header=BB23_122 Depth=1
	s_or_b32 exec_lo, exec_lo, s5
	v_add_nc_u32_e32 v8, 0x1000, v8
	s_add_i32 s4, s4, 8
	s_add_i32 s3, s3, -8
	s_cmp_lt_u32 s4, s29
	s_cbranch_scc0 .LBB23_124
.LBB23_122:                             ; =>This Inner Loop Header: Depth=1
	s_and_saveexec_b32 s5, s2
	s_cbranch_execz .LBB23_121
; %bb.123:                              ;   in Loop: Header=BB23_122 Depth=1
	v_lshrrev_b32_e32 v9, s4, v2
	s_min_u32 s6, s3, 8
	s_delay_alu instid0(VALU_DEP_1) | instid1(SALU_CYCLE_1)
	v_bfe_u32 v9, v9, 0, s6
	s_delay_alu instid0(VALU_DEP_1)
	v_lshl_add_u32 v9, v9, 4, v8
	ds_add_u32 v9, v7
	s_branch .LBB23_121
.LBB23_124:
	v_xor_b32_e32 v2, 0x80000000, v6
	v_dual_mov_b32 v6, 1 :: v_dual_mov_b32 v7, v1
	s_mov_b32 s2, s24
	s_mov_b32 s3, s28
	s_branch .LBB23_126
	.p2align	6
.LBB23_125:                             ;   in Loop: Header=BB23_126 Depth=1
	s_or_b32 exec_lo, exec_lo, s4
	v_add_nc_u32_e32 v7, 0x1000, v7
	s_add_i32 s3, s3, 8
	s_add_i32 s2, s2, -8
	s_cmp_lt_u32 s3, s29
	s_cbranch_scc0 .LBB23_128
.LBB23_126:                             ; =>This Inner Loop Header: Depth=1
	s_and_saveexec_b32 s4, s1
	s_cbranch_execz .LBB23_125
; %bb.127:                              ;   in Loop: Header=BB23_126 Depth=1
	v_lshrrev_b32_e32 v8, s3, v2
	s_min_u32 s5, s2, 8
	s_delay_alu instid0(VALU_DEP_1) | instid1(SALU_CYCLE_1)
	v_bfe_u32 v8, v8, 0, s5
	s_delay_alu instid0(VALU_DEP_1)
	v_lshl_add_u32 v8, v8, 4, v7
	ds_add_u32 v8, v6
	s_branch .LBB23_125
.LBB23_128:
	v_mov_b32_e32 v2, 1
	v_mov_b32_e32 v6, v1
	s_mov_b32 s1, s24
	s_mov_b32 s2, s28
	s_branch .LBB23_130
	.p2align	6
.LBB23_129:                             ;   in Loop: Header=BB23_130 Depth=1
	s_or_b32 exec_lo, exec_lo, s3
	v_add_nc_u32_e32 v6, 0x1000, v6
	s_add_i32 s2, s2, 8
	s_add_i32 s1, s1, -8
	s_cmp_lt_u32 s2, s29
	s_cbranch_scc0 .LBB23_132
.LBB23_130:                             ; =>This Inner Loop Header: Depth=1
	s_and_saveexec_b32 s3, s0
	s_cbranch_execz .LBB23_129
; %bb.131:                              ;   in Loop: Header=BB23_130 Depth=1
	v_lshrrev_b32_e32 v7, s2, v5
	s_min_u32 s4, s1, 8
	s_delay_alu instid0(VALU_DEP_1) | instid1(SALU_CYCLE_1)
	v_bfe_u32 v7, v7, 0, s4
	s_delay_alu instid0(VALU_DEP_1)
	v_lshl_add_u32 v7, v7, 4, v6
	ds_add_u32 v7, v2
	s_branch .LBB23_129
.LBB23_132:
	v_mov_b32_e32 v2, 1
	s_mov_b32 s0, s28
	s_branch .LBB23_134
	.p2align	6
.LBB23_133:                             ;   in Loop: Header=BB23_134 Depth=1
	s_or_b32 exec_lo, exec_lo, s1
	v_add_nc_u32_e32 v1, 0x1000, v1
	s_add_i32 s0, s0, 8
	s_add_i32 s24, s24, -8
	s_cmp_lt_u32 s0, s29
	s_cbranch_scc0 .LBB23_136
.LBB23_134:                             ; =>This Inner Loop Header: Depth=1
	s_and_saveexec_b32 s1, vcc_lo
	s_cbranch_execz .LBB23_133
; %bb.135:                              ;   in Loop: Header=BB23_134 Depth=1
	v_lshrrev_b32_e32 v5, s0, v4
	s_min_u32 s2, s24, 8
	s_delay_alu instid0(VALU_DEP_1) | instid1(SALU_CYCLE_1)
	v_bfe_u32 v5, v5, 0, s2
	s_delay_alu instid0(VALU_DEP_1)
	v_lshl_add_u32 v5, v5, 4, v1
	ds_add_u32 v5, v2
	s_branch .LBB23_133
.LBB23_136:
	s_and_b32 vcc_lo, exec_lo, s21
	s_waitcnt lgkmcnt(0)
	s_barrier
	buffer_gl0_inv
	s_cbranch_vccz .LBB23_141
; %bb.137:
	v_cmp_gt_u32_e32 vcc_lo, 0x100, v0
	v_dual_mov_b32 v1, v0 :: v_dual_lshlrev_b32 v4, 4, v0
	v_mov_b32_e32 v2, 0
	s_mov_b32 s1, s28
	s_set_inst_prefetch_distance 0x1
	s_branch .LBB23_139
	.p2align	6
.LBB23_138:                             ;   in Loop: Header=BB23_139 Depth=1
	s_or_b32 exec_lo, exec_lo, s2
	v_add_nc_u32_e32 v1, 0x100, v1
	v_add_nc_u32_e32 v4, 0x1000, v4
	s_add_i32 s1, s1, 8
	s_delay_alu instid0(SALU_CYCLE_1)
	s_cmp_lt_u32 s1, s29
	s_cbranch_scc0 .LBB23_141
.LBB23_139:                             ; =>This Inner Loop Header: Depth=1
	s_and_saveexec_b32 s2, vcc_lo
	s_cbranch_execz .LBB23_138
; %bb.140:                              ;   in Loop: Header=BB23_139 Depth=1
	ds_load_2addr_b32 v[5:6], v4 offset1:1
	ds_load_2addr_b32 v[7:8], v4 offset0:2 offset1:3
	v_lshlrev_b64 v[9:10], 3, v[1:2]
	s_waitcnt lgkmcnt(1)
	v_add_nc_u32_e32 v11, v6, v5
	s_delay_alu instid0(VALU_DEP_2) | instskip(NEXT) | instid1(VALU_DEP_1)
	v_add_co_u32 v5, s0, s22, v9
	v_add_co_ci_u32_e64 v6, s0, s23, v10, s0
	s_waitcnt lgkmcnt(0)
	s_delay_alu instid0(VALU_DEP_3)
	v_add3_u32 v7, v11, v7, v8
	v_mov_b32_e32 v8, v2
	global_atomic_add_u64 v[5:6], v[7:8], off
	s_branch .LBB23_138
.LBB23_141:
	s_set_inst_prefetch_distance 0x2
	s_mov_b32 s0, 0
.LBB23_142:
	s_delay_alu instid0(SALU_CYCLE_1)
	s_and_b32 vcc_lo, exec_lo, s0
	s_cbranch_vccz .LBB23_202
; %bb.143:
	v_add_co_u32 v34, s0, s30, v3
	s_delay_alu instid0(VALU_DEP_1)
	v_add_co_ci_u32_e64 v35, null, s31, 0, s0
	global_load_b32 v22, v3, s[30:31] offset:2048
	v_add_co_u32 v1, vcc_lo, 0x1000, v34
	v_add_co_ci_u32_e32 v2, vcc_lo, 0, v35, vcc_lo
	v_add_co_u32 v26, vcc_lo, v34, 0x2000
	v_add_co_ci_u32_e32 v27, vcc_lo, 0, v35, vcc_lo
	;; [unrolled: 2-line block ×9, first 2 shown]
	s_clause 0x4
	global_load_b32 v21, v[26:27], off
	global_load_b32 v19, v[8:9], off offset:-4096
	global_load_b32 v17, v[8:9], off
	global_load_b32 v14, v[12:13], off offset:-4096
	global_load_b32 v13, v[12:13], off
	v_add_co_u32 v8, vcc_lo, 0x7000, v34
	v_add_co_ci_u32_e32 v9, vcc_lo, 0, v35, vcc_lo
	v_add_co_u32 v30, vcc_lo, v34, 0x8000
	v_add_co_ci_u32_e32 v31, vcc_lo, 0, v35, vcc_lo
	;; [unrolled: 2-line block ×3, first 2 shown]
	s_clause 0x7
	global_load_b32 v23, v[1:2], off offset:2048
	global_load_b32 v20, v[4:5], off offset:2048
	;; [unrolled: 1-line block ×8, first 2 shown]
	v_add_co_u32 v1, vcc_lo, v34, 0xa000
	v_add_co_ci_u32_e32 v2, vcc_lo, 0, v35, vcc_lo
	v_add_co_u32 v4, vcc_lo, 0x9000, v34
	v_add_co_ci_u32_e32 v5, vcc_lo, 0, v35, vcc_lo
	;; [unrolled: 2-line block ×3, first 2 shown]
	s_clause 0x7
	global_load_b32 v11, v[30:31], off offset:-4096
	global_load_b32 v9, v[30:31], off
	global_load_b32 v7, v[1:2], off offset:-4096
	global_load_b32 v6, v[4:5], off offset:2048
	global_load_b32 v25, v3, s[30:31]
	global_load_b32 v5, v[1:2], off
	global_load_b32 v24, v[26:27], off offset:-4096
	global_load_b32 v4, v[28:29], off offset:2048
	s_cmp_lg_u32 s28, 0
	v_or_b32_e32 v26, 0xc00, v0
	s_cselect_b32 s0, -1, 0
	s_cmp_lg_u32 s29, 32
	s_cselect_b32 s1, -1, 0
	s_delay_alu instid0(SALU_CYCLE_1) | instskip(NEXT) | instid1(SALU_CYCLE_1)
	s_or_b32 s0, s0, s1
	s_and_b32 vcc_lo, exec_lo, s0
	s_mov_b32 s0, -1
	s_cbranch_vccz .LBB23_197
; %bb.144:
	v_mov_b32_e32 v1, 0
	s_mov_b32 s0, exec_lo
	ds_store_2addr_stride64_b32 v3, v1, v1 offset1:8
	ds_store_2addr_stride64_b32 v3, v1, v1 offset0:16 offset1:24
	ds_store_2addr_stride64_b32 v3, v1, v1 offset0:32 offset1:40
	ds_store_b32 v3, v1 offset:12288
	v_cmpx_gt_u32_e32 0xe00, v26
	s_cbranch_execz .LBB23_146
; %bb.145:
	ds_store_b32 v3, v1 offset:14336
.LBB23_146:
	s_or_b32 exec_lo, exec_lo, s0
	s_cmp_gt_u32 s29, s28
	s_waitcnt vmcnt(0) lgkmcnt(0)
	s_waitcnt_vscnt null, 0x0
	s_cselect_b32 s0, -1, 0
	s_cmp_le_u32 s29, s28
	s_barrier
	buffer_gl0_inv
	s_cbranch_scc1 .LBB23_191
; %bb.147:
	v_and_b32_e32 v1, 3, v0
	v_xor_b32_e32 v2, 0x80000000, v25
	s_sub_i32 s1, s29, s28
	s_mov_b32 s3, s28
	s_mov_b32 s2, s1
	v_lshlrev_b32_e32 v1, 2, v1
	s_delay_alu instid0(VALU_DEP_1)
	v_dual_mov_b32 v27, 1 :: v_dual_mov_b32 v28, v1
.LBB23_148:                             ; =>This Inner Loop Header: Depth=1
	v_lshrrev_b32_e32 v29, s3, v2
	s_min_u32 s4, s2, 8
	s_add_i32 s3, s3, 8
	s_add_i32 s2, s2, -8
	s_cmp_lt_u32 s3, s29
	v_bfe_u32 v29, v29, 0, s4
	s_delay_alu instid0(VALU_DEP_1)
	v_lshl_add_u32 v29, v29, 4, v28
	v_add_nc_u32_e32 v28, 0x1000, v28
	ds_add_u32 v29, v27
	s_cbranch_scc1 .LBB23_148
; %bb.149:
	v_xor_b32_e32 v2, 0x80000000, v22
	v_dual_mov_b32 v27, 1 :: v_dual_mov_b32 v28, v1
	s_mov_b32 s2, s1
	s_mov_b32 s3, s28
.LBB23_150:                             ; =>This Inner Loop Header: Depth=1
	s_delay_alu instid0(VALU_DEP_2) | instid1(SALU_CYCLE_1)
	v_lshrrev_b32_e32 v29, s3, v2
	s_min_u32 s4, s2, 8
	s_add_i32 s3, s3, 8
	s_add_i32 s2, s2, -8
	s_cmp_lt_u32 s3, s29
	v_bfe_u32 v29, v29, 0, s4
	s_delay_alu instid0(VALU_DEP_1)
	v_lshl_add_u32 v29, v29, 4, v28
	v_add_nc_u32_e32 v28, 0x1000, v28
	ds_add_u32 v29, v27
	s_cbranch_scc1 .LBB23_150
; %bb.151:
	v_xor_b32_e32 v2, 0x80000000, v24
	v_dual_mov_b32 v27, 1 :: v_dual_mov_b32 v28, v1
	s_mov_b32 s2, s1
	s_mov_b32 s3, s28
.LBB23_152:                             ; =>This Inner Loop Header: Depth=1
	s_delay_alu instid0(VALU_DEP_2) | instid1(SALU_CYCLE_1)
	v_lshrrev_b32_e32 v29, s3, v2
	s_min_u32 s4, s2, 8
	s_add_i32 s3, s3, 8
	s_add_i32 s2, s2, -8
	s_cmp_lt_u32 s3, s29
	v_bfe_u32 v29, v29, 0, s4
	s_delay_alu instid0(VALU_DEP_1)
	v_lshl_add_u32 v29, v29, 4, v28
	v_add_nc_u32_e32 v28, 0x1000, v28
	ds_add_u32 v29, v27
	s_cbranch_scc1 .LBB23_152
	;; [unrolled: 18-line block ×20, first 2 shown]
; %bb.189:
	v_xor_b32_e32 v2, 0x80000000, v4
	v_mov_b32_e32 v27, 1
	s_mov_b32 s2, s28
.LBB23_190:                             ; =>This Inner Loop Header: Depth=1
	s_delay_alu instid0(VALU_DEP_2) | instid1(SALU_CYCLE_1)
	v_lshrrev_b32_e32 v28, s2, v2
	s_min_u32 s3, s1, 8
	s_add_i32 s2, s2, 8
	s_add_i32 s1, s1, -8
	s_cmp_lt_u32 s2, s29
	v_bfe_u32 v28, v28, 0, s3
	s_delay_alu instid0(VALU_DEP_1)
	v_lshl_add_u32 v28, v28, 4, v1
	v_add_nc_u32_e32 v1, 0x1000, v1
	ds_add_u32 v28, v27
	s_cbranch_scc1 .LBB23_190
.LBB23_191:
	s_and_b32 vcc_lo, exec_lo, s0
	s_waitcnt lgkmcnt(0)
	s_barrier
	buffer_gl0_inv
	s_cbranch_vccz .LBB23_196
; %bb.192:
	v_cmp_gt_u32_e32 vcc_lo, 0x100, v0
	v_dual_mov_b32 v2, 0 :: v_dual_lshlrev_b32 v27, 4, v0
	v_mov_b32_e32 v1, v0
	s_set_inst_prefetch_distance 0x1
	s_branch .LBB23_194
	.p2align	6
.LBB23_193:                             ;   in Loop: Header=BB23_194 Depth=1
	s_or_b32 exec_lo, exec_lo, s1
	v_add_nc_u32_e32 v1, 0x100, v1
	v_add_nc_u32_e32 v27, 0x1000, v27
	s_add_i32 s28, s28, 8
	s_delay_alu instid0(SALU_CYCLE_1)
	s_cmp_ge_u32 s28, s29
	s_cbranch_scc1 .LBB23_196
.LBB23_194:                             ; =>This Inner Loop Header: Depth=1
	s_and_saveexec_b32 s1, vcc_lo
	s_cbranch_execz .LBB23_193
; %bb.195:                              ;   in Loop: Header=BB23_194 Depth=1
	ds_load_2addr_b32 v[28:29], v27 offset1:1
	ds_load_2addr_b32 v[30:31], v27 offset0:2 offset1:3
	v_lshlrev_b64 v[32:33], 3, v[1:2]
	s_waitcnt lgkmcnt(1)
	v_add_nc_u32_e32 v34, v29, v28
	s_delay_alu instid0(VALU_DEP_2) | instskip(NEXT) | instid1(VALU_DEP_1)
	v_add_co_u32 v28, s0, s22, v32
	v_add_co_ci_u32_e64 v29, s0, s23, v33, s0
	s_waitcnt lgkmcnt(0)
	s_delay_alu instid0(VALU_DEP_3)
	v_add3_u32 v30, v34, v30, v31
	v_mov_b32_e32 v31, v2
	global_atomic_add_u64 v[28:29], v[30:31], off
	s_branch .LBB23_193
.LBB23_196:
	s_set_inst_prefetch_distance 0x2
	s_mov_b32 s0, 0
.LBB23_197:
	s_delay_alu instid0(SALU_CYCLE_1)
	s_and_b32 vcc_lo, exec_lo, s0
	s_cbranch_vccz .LBB23_202
; %bb.198:
	v_mov_b32_e32 v1, 0
	s_mov_b32 s0, exec_lo
	ds_store_2addr_stride64_b32 v3, v1, v1 offset1:8
	ds_store_2addr_stride64_b32 v3, v1, v1 offset0:16 offset1:24
	ds_store_2addr_stride64_b32 v3, v1, v1 offset0:32 offset1:40
	ds_store_b32 v3, v1 offset:12288
	v_cmpx_gt_u32_e32 0xe00, v26
	s_cbranch_execz .LBB23_200
; %bb.199:
	ds_store_b32 v3, v1 offset:14336
.LBB23_200:
	s_or_b32 exec_lo, exec_lo, s0
	v_and_b32_e32 v1, 3, v0
	s_waitcnt vmcnt(3)
	v_lshlrev_b32_e32 v2, 2, v25
	v_lshrrev_b32_e32 v3, 6, v25
	v_lshrrev_b32_e32 v26, 14, v25
	;; [unrolled: 1-line block ×3, first 2 shown]
	s_waitcnt vmcnt(0) lgkmcnt(0)
	s_waitcnt_vscnt null, 0x0
	v_and_or_b32 v27, 0x3fc, v2, v1
	v_mov_b32_e32 v2, 1
	v_and_or_b32 v3, 0x3fc, v3, v1
	v_and_or_b32 v26, 0x3fc, v26, v1
	s_barrier
	v_lshlrev_b32_e32 v27, 2, v27
	buffer_gl0_inv
	v_lshlrev_b32_e32 v28, 2, v3
	v_or_b32_e32 v3, 0xc00, v1
	v_lshlrev_b32_e32 v26, 2, v26
	ds_add_u32 v27, v2
	ds_add_u32 v28, v2 offset:4096
	ds_add_u32 v26, v2 offset:8192
	v_and_or_b32 v25, 0x3fc, v25, v3
	v_lshlrev_b32_e32 v26, 2, v22
	v_lshrrev_b32_e32 v27, 6, v22
	v_lshrrev_b32_e32 v28, 14, v22
	v_lshrrev_b32_e32 v22, 22, v22
	v_xor_b32_e32 v25, 0x200, v25
	v_and_or_b32 v26, 0x3fc, v26, v1
	v_and_or_b32 v27, 0x3fc, v27, v1
	;; [unrolled: 1-line block ×4, first 2 shown]
	v_lshlrev_b32_e32 v25, 2, v25
	v_lshlrev_b32_e32 v26, 2, v26
	;; [unrolled: 1-line block ×4, first 2 shown]
	v_xor_b32_e32 v22, 0x200, v22
	ds_add_u32 v25, v2
	ds_add_u32 v26, v2
	ds_add_u32 v27, v2 offset:4096
	ds_add_u32 v28, v2 offset:8192
	v_lshlrev_b32_e32 v25, 2, v24
	v_lshrrev_b32_e32 v26, 6, v24
	v_lshrrev_b32_e32 v27, 14, v24
	v_lshlrev_b32_e32 v22, 2, v22
	v_lshrrev_b32_e32 v24, 22, v24
	s_mov_b32 s0, exec_lo
	ds_add_u32 v22, v2
	v_and_or_b32 v22, 0x3fc, v25, v1
	v_and_or_b32 v24, 0x3fc, v24, v3
	;; [unrolled: 1-line block ×4, first 2 shown]
	v_lshlrev_b32_e32 v27, 2, v23
	v_lshlrev_b32_e32 v22, 2, v22
	v_xor_b32_e32 v24, 0x200, v24
	v_lshlrev_b32_e32 v25, 2, v25
	v_lshlrev_b32_e32 v26, 2, v26
	v_and_or_b32 v27, 0x3fc, v27, v1
	ds_add_u32 v22, v2
	ds_add_u32 v25, v2 offset:4096
	ds_add_u32 v26, v2 offset:8192
	v_lshlrev_b32_e32 v22, 2, v24
	v_lshrrev_b32_e32 v25, 6, v23
	v_lshrrev_b32_e32 v26, 14, v23
	;; [unrolled: 1-line block ×3, first 2 shown]
	v_lshlrev_b32_e32 v24, 2, v27
	ds_add_u32 v22, v2
	ds_add_u32 v24, v2
	v_and_or_b32 v22, 0x3fc, v25, v1
	v_and_or_b32 v23, 0x3fc, v23, v3
	v_lshlrev_b32_e32 v25, 2, v21
	v_and_or_b32 v24, 0x3fc, v26, v1
	v_lshrrev_b32_e32 v26, 6, v21
	v_lshlrev_b32_e32 v22, 2, v22
	v_xor_b32_e32 v23, 0x200, v23
	v_and_or_b32 v25, 0x3fc, v25, v1
	v_lshlrev_b32_e32 v24, 2, v24
	v_and_or_b32 v26, 0x3fc, v26, v1
	ds_add_u32 v22, v2 offset:4096
	ds_add_u32 v24, v2 offset:8192
	v_lshlrev_b32_e32 v22, 2, v23
	v_lshlrev_b32_e32 v23, 2, v25
	v_lshrrev_b32_e32 v25, 14, v21
	v_lshrrev_b32_e32 v21, 22, v21
	v_lshlrev_b32_e32 v24, 2, v26
	ds_add_u32 v22, v2
	ds_add_u32 v23, v2
	ds_add_u32 v24, v2 offset:4096
	v_and_or_b32 v21, 0x3fc, v21, v3
	v_and_or_b32 v22, 0x3fc, v25, v1
	v_lshlrev_b32_e32 v23, 2, v20
	v_lshrrev_b32_e32 v24, 6, v20
	v_lshrrev_b32_e32 v25, 14, v20
	v_xor_b32_e32 v21, 0x200, v21
	v_lshlrev_b32_e32 v22, 2, v22
	v_and_or_b32 v23, 0x3fc, v23, v1
	v_and_or_b32 v24, 0x3fc, v24, v1
	;; [unrolled: 1-line block ×3, first 2 shown]
	v_lshlrev_b32_e32 v21, 2, v21
	v_lshrrev_b32_e32 v20, 22, v20
	ds_add_u32 v22, v2 offset:8192
	v_lshlrev_b32_e32 v22, 2, v23
	v_lshlrev_b32_e32 v23, 2, v24
	;; [unrolled: 1-line block ×3, first 2 shown]
	ds_add_u32 v21, v2
	ds_add_u32 v22, v2
	ds_add_u32 v23, v2 offset:4096
	ds_add_u32 v24, v2 offset:8192
	v_and_or_b32 v20, 0x3fc, v20, v3
	v_lshlrev_b32_e32 v21, 2, v19
	v_lshrrev_b32_e32 v22, 6, v19
	v_lshrrev_b32_e32 v23, 14, v19
	;; [unrolled: 1-line block ×3, first 2 shown]
	v_xor_b32_e32 v20, 0x200, v20
	v_and_or_b32 v21, 0x3fc, v21, v1
	v_and_or_b32 v22, 0x3fc, v22, v1
	;; [unrolled: 1-line block ×4, first 2 shown]
	v_lshlrev_b32_e32 v20, 2, v20
	v_lshlrev_b32_e32 v21, 2, v21
	;; [unrolled: 1-line block ×4, first 2 shown]
	v_xor_b32_e32 v19, 0x200, v19
	ds_add_u32 v20, v2
	ds_add_u32 v21, v2
	ds_add_u32 v22, v2 offset:4096
	ds_add_u32 v23, v2 offset:8192
	v_lshlrev_b32_e32 v20, 2, v18
	v_lshrrev_b32_e32 v21, 6, v18
	v_lshrrev_b32_e32 v22, 14, v18
	v_lshlrev_b32_e32 v19, 2, v19
	v_lshrrev_b32_e32 v18, 22, v18
	ds_add_u32 v19, v2
	v_and_or_b32 v19, 0x3fc, v20, v1
	v_and_or_b32 v18, 0x3fc, v18, v3
	v_and_or_b32 v20, 0x3fc, v21, v1
	v_and_or_b32 v21, 0x3fc, v22, v1
	v_lshlrev_b32_e32 v22, 2, v17
	v_lshlrev_b32_e32 v19, 2, v19
	v_xor_b32_e32 v18, 0x200, v18
	v_lshlrev_b32_e32 v20, 2, v20
	v_lshlrev_b32_e32 v21, 2, v21
	v_and_or_b32 v22, 0x3fc, v22, v1
	ds_add_u32 v19, v2
	ds_add_u32 v20, v2 offset:4096
	ds_add_u32 v21, v2 offset:8192
	v_lshlrev_b32_e32 v18, 2, v18
	v_lshrrev_b32_e32 v20, 6, v17
	v_lshlrev_b32_e32 v19, 2, v22
	v_lshrrev_b32_e32 v21, 14, v17
	v_lshrrev_b32_e32 v17, 22, v17
	ds_add_u32 v18, v2
	ds_add_u32 v19, v2
	v_and_or_b32 v18, 0x3fc, v20, v1
	v_lshlrev_b32_e32 v20, 2, v16
	v_and_or_b32 v19, 0x3fc, v21, v1
	v_and_or_b32 v17, 0x3fc, v17, v3
	v_lshrrev_b32_e32 v21, 6, v16
	v_lshlrev_b32_e32 v18, 2, v18
	v_and_or_b32 v20, 0x3fc, v20, v1
	v_lshlrev_b32_e32 v19, 2, v19
	v_xor_b32_e32 v17, 0x200, v17
	v_and_or_b32 v21, 0x3fc, v21, v1
	ds_add_u32 v18, v2 offset:4096
	ds_add_u32 v19, v2 offset:8192
	v_lshlrev_b32_e32 v18, 2, v20
	v_lshrrev_b32_e32 v20, 14, v16
	v_lshrrev_b32_e32 v16, 22, v16
	v_lshlrev_b32_e32 v17, 2, v17
	v_lshlrev_b32_e32 v19, 2, v21
	ds_add_u32 v17, v2
	ds_add_u32 v18, v2
	ds_add_u32 v19, v2 offset:4096
	v_and_or_b32 v16, 0x3fc, v16, v3
	v_and_or_b32 v17, 0x3fc, v20, v1
	v_lshlrev_b32_e32 v18, 2, v14
	v_lshrrev_b32_e32 v19, 6, v14
	v_lshrrev_b32_e32 v20, 14, v14
	v_xor_b32_e32 v16, 0x200, v16
	v_lshlrev_b32_e32 v17, 2, v17
	v_and_or_b32 v18, 0x3fc, v18, v1
	v_and_or_b32 v19, 0x3fc, v19, v1
	;; [unrolled: 1-line block ×3, first 2 shown]
	v_lshlrev_b32_e32 v16, 2, v16
	v_lshrrev_b32_e32 v14, 22, v14
	ds_add_u32 v17, v2 offset:8192
	v_lshlrev_b32_e32 v17, 2, v18
	v_lshlrev_b32_e32 v18, 2, v19
	;; [unrolled: 1-line block ×3, first 2 shown]
	ds_add_u32 v16, v2
	ds_add_u32 v17, v2
	ds_add_u32 v18, v2 offset:4096
	ds_add_u32 v19, v2 offset:8192
	v_and_or_b32 v14, 0x3fc, v14, v3
	v_lshlrev_b32_e32 v16, 2, v15
	v_lshrrev_b32_e32 v17, 6, v15
	v_lshrrev_b32_e32 v18, 14, v15
	;; [unrolled: 1-line block ×3, first 2 shown]
	v_xor_b32_e32 v14, 0x200, v14
	v_and_or_b32 v16, 0x3fc, v16, v1
	v_and_or_b32 v17, 0x3fc, v17, v1
	;; [unrolled: 1-line block ×4, first 2 shown]
	v_lshlrev_b32_e32 v14, 2, v14
	v_lshlrev_b32_e32 v16, 2, v16
	v_lshlrev_b32_e32 v17, 2, v17
	v_lshlrev_b32_e32 v18, 2, v18
	v_xor_b32_e32 v15, 0x200, v15
	ds_add_u32 v14, v2
	ds_add_u32 v16, v2
	ds_add_u32 v17, v2 offset:4096
	ds_add_u32 v18, v2 offset:8192
	v_lshrrev_b32_e32 v16, 6, v13
	v_lshrrev_b32_e32 v17, 14, v13
	v_lshlrev_b32_e32 v14, 2, v15
	v_lshlrev_b32_e32 v15, 2, v13
	v_lshrrev_b32_e32 v13, 22, v13
	ds_add_u32 v14, v2
	v_and_or_b32 v14, 0x3fc, v15, v1
	v_and_or_b32 v13, 0x3fc, v13, v3
	;; [unrolled: 1-line block ×4, first 2 shown]
	v_lshlrev_b32_e32 v17, 2, v12
	v_lshlrev_b32_e32 v14, 2, v14
	v_xor_b32_e32 v13, 0x200, v13
	v_lshlrev_b32_e32 v15, 2, v15
	v_lshlrev_b32_e32 v16, 2, v16
	v_and_or_b32 v17, 0x3fc, v17, v1
	ds_add_u32 v14, v2
	ds_add_u32 v15, v2 offset:4096
	ds_add_u32 v16, v2 offset:8192
	v_lshlrev_b32_e32 v13, 2, v13
	v_lshrrev_b32_e32 v15, 6, v12
	v_lshlrev_b32_e32 v14, 2, v17
	v_lshrrev_b32_e32 v16, 14, v12
	v_lshrrev_b32_e32 v12, 22, v12
	ds_add_u32 v13, v2
	ds_add_u32 v14, v2
	v_and_or_b32 v13, 0x3fc, v15, v1
	v_lshlrev_b32_e32 v15, 2, v11
	v_and_or_b32 v14, 0x3fc, v16, v1
	v_and_or_b32 v12, 0x3fc, v12, v3
	v_lshrrev_b32_e32 v16, 6, v11
	v_lshlrev_b32_e32 v13, 2, v13
	v_and_or_b32 v15, 0x3fc, v15, v1
	v_lshlrev_b32_e32 v14, 2, v14
	v_xor_b32_e32 v12, 0x200, v12
	v_and_or_b32 v16, 0x3fc, v16, v1
	ds_add_u32 v13, v2 offset:4096
	ds_add_u32 v14, v2 offset:8192
	v_lshlrev_b32_e32 v13, 2, v15
	v_lshrrev_b32_e32 v15, 14, v11
	v_lshrrev_b32_e32 v11, 22, v11
	v_lshlrev_b32_e32 v12, 2, v12
	v_lshlrev_b32_e32 v14, 2, v16
	ds_add_u32 v12, v2
	ds_add_u32 v13, v2
	ds_add_u32 v14, v2 offset:4096
	v_and_or_b32 v11, 0x3fc, v11, v3
	v_and_or_b32 v12, 0x3fc, v15, v1
	v_lshlrev_b32_e32 v13, 2, v10
	v_lshrrev_b32_e32 v14, 6, v10
	v_lshrrev_b32_e32 v15, 14, v10
	v_xor_b32_e32 v11, 0x200, v11
	v_lshlrev_b32_e32 v12, 2, v12
	v_and_or_b32 v13, 0x3fc, v13, v1
	v_and_or_b32 v14, 0x3fc, v14, v1
	;; [unrolled: 1-line block ×3, first 2 shown]
	v_lshlrev_b32_e32 v11, 2, v11
	v_lshrrev_b32_e32 v10, 22, v10
	ds_add_u32 v12, v2 offset:8192
	v_lshlrev_b32_e32 v12, 2, v13
	v_lshlrev_b32_e32 v13, 2, v14
	;; [unrolled: 1-line block ×3, first 2 shown]
	ds_add_u32 v11, v2
	ds_add_u32 v12, v2
	ds_add_u32 v13, v2 offset:4096
	ds_add_u32 v14, v2 offset:8192
	v_and_or_b32 v10, 0x3fc, v10, v3
	v_lshlrev_b32_e32 v11, 2, v9
	v_lshrrev_b32_e32 v12, 6, v9
	v_lshrrev_b32_e32 v13, 14, v9
	;; [unrolled: 1-line block ×3, first 2 shown]
	v_xor_b32_e32 v10, 0x200, v10
	v_and_or_b32 v11, 0x3fc, v11, v1
	v_and_or_b32 v12, 0x3fc, v12, v1
	;; [unrolled: 1-line block ×4, first 2 shown]
	v_lshlrev_b32_e32 v10, 2, v10
	v_lshlrev_b32_e32 v11, 2, v11
	;; [unrolled: 1-line block ×4, first 2 shown]
	v_xor_b32_e32 v9, 0x200, v9
	ds_add_u32 v10, v2
	ds_add_u32 v11, v2
	ds_add_u32 v12, v2 offset:4096
	ds_add_u32 v13, v2 offset:8192
	v_lshlrev_b32_e32 v10, 2, v8
	v_lshrrev_b32_e32 v11, 6, v8
	v_lshrrev_b32_e32 v12, 14, v8
	v_lshlrev_b32_e32 v9, 2, v9
	v_lshrrev_b32_e32 v8, 22, v8
	ds_add_u32 v9, v2
	v_and_or_b32 v9, 0x3fc, v10, v1
	v_and_or_b32 v8, 0x3fc, v8, v3
	;; [unrolled: 1-line block ×4, first 2 shown]
	v_lshlrev_b32_e32 v12, 2, v7
	v_lshlrev_b32_e32 v9, 2, v9
	v_xor_b32_e32 v8, 0x200, v8
	v_lshlrev_b32_e32 v10, 2, v10
	v_lshlrev_b32_e32 v11, 2, v11
	v_and_or_b32 v12, 0x3fc, v12, v1
	ds_add_u32 v9, v2
	ds_add_u32 v10, v2 offset:4096
	ds_add_u32 v11, v2 offset:8192
	v_lshlrev_b32_e32 v8, 2, v8
	v_lshrrev_b32_e32 v10, 6, v7
	v_lshrrev_b32_e32 v11, 14, v7
	;; [unrolled: 1-line block ×3, first 2 shown]
	v_lshlrev_b32_e32 v9, 2, v12
	ds_add_u32 v8, v2
	ds_add_u32 v9, v2
	v_and_or_b32 v8, 0x3fc, v10, v1
	v_and_or_b32 v7, 0x3fc, v7, v3
	v_lshlrev_b32_e32 v10, 2, v6
	v_and_or_b32 v9, 0x3fc, v11, v1
	v_lshrrev_b32_e32 v11, 6, v6
	v_lshlrev_b32_e32 v8, 2, v8
	v_xor_b32_e32 v7, 0x200, v7
	v_and_or_b32 v10, 0x3fc, v10, v1
	v_lshlrev_b32_e32 v9, 2, v9
	v_and_or_b32 v11, 0x3fc, v11, v1
	ds_add_u32 v8, v2 offset:4096
	ds_add_u32 v9, v2 offset:8192
	v_lshlrev_b32_e32 v7, 2, v7
	v_lshlrev_b32_e32 v8, 2, v10
	v_lshrrev_b32_e32 v10, 22, v6
	v_lshrrev_b32_e32 v6, 14, v6
	v_lshlrev_b32_e32 v9, 2, v11
	ds_add_u32 v7, v2
	ds_add_u32 v8, v2
	ds_add_u32 v9, v2 offset:4096
	v_and_or_b32 v7, 0x3fc, v10, v3
	v_and_or_b32 v6, 0x3fc, v6, v1
	v_lshlrev_b32_e32 v8, 2, v5
	v_lshrrev_b32_e32 v9, 6, v5
	v_lshrrev_b32_e32 v10, 14, v5
	v_xor_b32_e32 v7, 0x200, v7
	v_lshlrev_b32_e32 v6, 2, v6
	v_and_or_b32 v8, 0x3fc, v8, v1
	v_and_or_b32 v9, 0x3fc, v9, v1
	;; [unrolled: 1-line block ×3, first 2 shown]
	v_lshlrev_b32_e32 v7, 2, v7
	ds_add_u32 v6, v2 offset:8192
	v_lshlrev_b32_e32 v6, 2, v8
	v_lshlrev_b32_e32 v8, 2, v9
	v_lshrrev_b32_e32 v5, 22, v5
	v_lshlrev_b32_e32 v9, 2, v10
	ds_add_u32 v7, v2
	ds_add_u32 v6, v2
	ds_add_u32 v8, v2 offset:4096
	ds_add_u32 v9, v2 offset:8192
	v_lshrrev_b32_e32 v6, 22, v4
	v_and_or_b32 v5, 0x3fc, v5, v3
	v_lshlrev_b32_e32 v7, 2, v4
	v_lshrrev_b32_e32 v8, 6, v4
	v_lshrrev_b32_e32 v4, 14, v4
	v_and_or_b32 v3, 0x3fc, v6, v3
	v_xor_b32_e32 v5, 0x200, v5
	v_and_or_b32 v6, 0x3fc, v7, v1
	v_and_or_b32 v7, 0x3fc, v8, v1
	;; [unrolled: 1-line block ×3, first 2 shown]
	v_xor_b32_e32 v3, 0x200, v3
	v_lshlrev_b32_e32 v4, 2, v5
	v_lshlrev_b32_e32 v5, 2, v6
	;; [unrolled: 1-line block ×5, first 2 shown]
	ds_add_u32 v4, v2
	ds_add_u32 v5, v2
	ds_add_u32 v6, v2 offset:4096
	ds_add_u32 v1, v2 offset:8192
	ds_add_u32 v3, v2
	s_waitcnt lgkmcnt(0)
	s_barrier
	buffer_gl0_inv
	v_cmpx_gt_u32_e32 0x100, v0
	s_cbranch_execz .LBB23_202
; %bb.201:
	v_lshlrev_b32_e32 v6, 4, v0
	v_lshlrev_b32_e32 v7, 3, v0
	ds_load_2addr_b32 v[1:2], v6 offset1:1
	ds_load_2addr_b32 v[3:4], v6 offset0:2 offset1:3
	s_waitcnt lgkmcnt(1)
	v_dual_mov_b32 v1, 0 :: v_dual_add_nc_u32 v2, v2, v1
	s_waitcnt lgkmcnt(0)
	s_delay_alu instid0(VALU_DEP_1)
	v_add3_u32 v0, v2, v3, v4
	v_add_nc_u32_e32 v2, 0x1000, v6
	v_add_nc_u32_e32 v4, 0x1008, v6
	global_atomic_add_u64 v7, v[0:1], s[22:23]
	ds_load_2addr_b32 v[2:3], v2 offset1:1
	ds_load_2addr_b32 v[4:5], v4 offset1:1
	s_waitcnt lgkmcnt(1)
	v_add_nc_u32_e32 v0, v3, v2
	v_or_b32_e32 v2, 0x2000, v6
	s_waitcnt lgkmcnt(0)
	s_delay_alu instid0(VALU_DEP_2)
	v_add3_u32 v0, v0, v4, v5
	v_or_b32_e32 v4, 0x2008, v6
	global_atomic_add_u64 v7, v[0:1], s[22:23] offset:2048
	ds_load_2addr_b32 v[2:3], v2 offset1:1
	ds_load_2addr_b32 v[4:5], v4 offset1:1
	s_waitcnt lgkmcnt(1)
	v_add_nc_u32_e32 v0, v3, v2
	v_or_b32_e32 v2, 0x1000, v7
	v_add_nc_u32_e32 v3, 0x3000, v6
	s_waitcnt lgkmcnt(0)
	s_delay_alu instid0(VALU_DEP_3)
	v_add3_u32 v0, v0, v4, v5
	v_add_nc_u32_e32 v4, 0x3008, v6
	global_atomic_add_u64 v2, v[0:1], s[22:23]
	ds_load_2addr_b32 v[2:3], v3 offset1:1
	ds_load_2addr_b32 v[4:5], v4 offset1:1
	s_waitcnt lgkmcnt(1)
	v_add_nc_u32_e32 v0, v3, v2
	v_or_b32_e32 v2, 0x1800, v7
	s_waitcnt lgkmcnt(0)
	s_delay_alu instid0(VALU_DEP_2)
	v_add3_u32 v0, v0, v4, v5
	global_atomic_add_u64 v2, v[0:1], s[22:23]
.LBB23_202:
	s_nop 0
	s_sendmsg sendmsg(MSG_DEALLOC_VGPRS)
	s_endpgm
	.section	.rodata,"a",@progbits
	.p2align	6, 0x0
	.amdhsa_kernel _ZN7rocprim17ROCPRIM_304000_NS6detail26onesweep_histograms_kernelINS1_34wrapped_radix_sort_onesweep_configINS0_14default_configEiN2at4cuda3cub6detail10OpaqueTypeILi1EEEEELb0EPKimNS0_19identity_decomposerEEEvT1_PT2_SG_SG_T3_jj
		.amdhsa_group_segment_fixed_size 16384
		.amdhsa_private_segment_fixed_size 0
		.amdhsa_kernarg_size 44
		.amdhsa_user_sgpr_count 15
		.amdhsa_user_sgpr_dispatch_ptr 0
		.amdhsa_user_sgpr_queue_ptr 0
		.amdhsa_user_sgpr_kernarg_segment_ptr 1
		.amdhsa_user_sgpr_dispatch_id 0
		.amdhsa_user_sgpr_private_segment_size 0
		.amdhsa_wavefront_size32 1
		.amdhsa_uses_dynamic_stack 0
		.amdhsa_enable_private_segment 0
		.amdhsa_system_sgpr_workgroup_id_x 1
		.amdhsa_system_sgpr_workgroup_id_y 0
		.amdhsa_system_sgpr_workgroup_id_z 0
		.amdhsa_system_sgpr_workgroup_info 0
		.amdhsa_system_vgpr_workitem_id 0
		.amdhsa_next_free_vgpr 36
		.amdhsa_next_free_sgpr 34
		.amdhsa_reserve_vcc 1
		.amdhsa_float_round_mode_32 0
		.amdhsa_float_round_mode_16_64 0
		.amdhsa_float_denorm_mode_32 3
		.amdhsa_float_denorm_mode_16_64 3
		.amdhsa_dx10_clamp 1
		.amdhsa_ieee_mode 1
		.amdhsa_fp16_overflow 0
		.amdhsa_workgroup_processor_mode 1
		.amdhsa_memory_ordered 1
		.amdhsa_forward_progress 0
		.amdhsa_shared_vgpr_count 0
		.amdhsa_exception_fp_ieee_invalid_op 0
		.amdhsa_exception_fp_denorm_src 0
		.amdhsa_exception_fp_ieee_div_zero 0
		.amdhsa_exception_fp_ieee_overflow 0
		.amdhsa_exception_fp_ieee_underflow 0
		.amdhsa_exception_fp_ieee_inexact 0
		.amdhsa_exception_int_div_zero 0
	.end_amdhsa_kernel
	.section	.text._ZN7rocprim17ROCPRIM_304000_NS6detail26onesweep_histograms_kernelINS1_34wrapped_radix_sort_onesweep_configINS0_14default_configEiN2at4cuda3cub6detail10OpaqueTypeILi1EEEEELb0EPKimNS0_19identity_decomposerEEEvT1_PT2_SG_SG_T3_jj,"axG",@progbits,_ZN7rocprim17ROCPRIM_304000_NS6detail26onesweep_histograms_kernelINS1_34wrapped_radix_sort_onesweep_configINS0_14default_configEiN2at4cuda3cub6detail10OpaqueTypeILi1EEEEELb0EPKimNS0_19identity_decomposerEEEvT1_PT2_SG_SG_T3_jj,comdat
.Lfunc_end23:
	.size	_ZN7rocprim17ROCPRIM_304000_NS6detail26onesweep_histograms_kernelINS1_34wrapped_radix_sort_onesweep_configINS0_14default_configEiN2at4cuda3cub6detail10OpaqueTypeILi1EEEEELb0EPKimNS0_19identity_decomposerEEEvT1_PT2_SG_SG_T3_jj, .Lfunc_end23-_ZN7rocprim17ROCPRIM_304000_NS6detail26onesweep_histograms_kernelINS1_34wrapped_radix_sort_onesweep_configINS0_14default_configEiN2at4cuda3cub6detail10OpaqueTypeILi1EEEEELb0EPKimNS0_19identity_decomposerEEEvT1_PT2_SG_SG_T3_jj
                                        ; -- End function
	.section	.AMDGPU.csdata,"",@progbits
; Kernel info:
; codeLenInByte = 9788
; NumSgprs: 36
; NumVgprs: 36
; ScratchSize: 0
; MemoryBound: 0
; FloatMode: 240
; IeeeMode: 1
; LDSByteSize: 16384 bytes/workgroup (compile time only)
; SGPRBlocks: 4
; VGPRBlocks: 4
; NumSGPRsForWavesPerEU: 36
; NumVGPRsForWavesPerEU: 36
; Occupancy: 16
; WaveLimiterHint : 1
; COMPUTE_PGM_RSRC2:SCRATCH_EN: 0
; COMPUTE_PGM_RSRC2:USER_SGPR: 15
; COMPUTE_PGM_RSRC2:TRAP_HANDLER: 0
; COMPUTE_PGM_RSRC2:TGID_X_EN: 1
; COMPUTE_PGM_RSRC2:TGID_Y_EN: 0
; COMPUTE_PGM_RSRC2:TGID_Z_EN: 0
; COMPUTE_PGM_RSRC2:TIDIG_COMP_CNT: 0
	.section	.text._ZN7rocprim17ROCPRIM_304000_NS6detail25onesweep_iteration_kernelINS1_34wrapped_radix_sort_onesweep_configINS0_14default_configEiN2at4cuda3cub6detail10OpaqueTypeILi1EEEEELb0EPKiPiPKSA_PSA_mNS0_19identity_decomposerEEEvT1_T2_T3_T4_jPT5_SO_PNS1_23onesweep_lookback_stateET6_jjj,"axG",@progbits,_ZN7rocprim17ROCPRIM_304000_NS6detail25onesweep_iteration_kernelINS1_34wrapped_radix_sort_onesweep_configINS0_14default_configEiN2at4cuda3cub6detail10OpaqueTypeILi1EEEEELb0EPKiPiPKSA_PSA_mNS0_19identity_decomposerEEEvT1_T2_T3_T4_jPT5_SO_PNS1_23onesweep_lookback_stateET6_jjj,comdat
	.protected	_ZN7rocprim17ROCPRIM_304000_NS6detail25onesweep_iteration_kernelINS1_34wrapped_radix_sort_onesweep_configINS0_14default_configEiN2at4cuda3cub6detail10OpaqueTypeILi1EEEEELb0EPKiPiPKSA_PSA_mNS0_19identity_decomposerEEEvT1_T2_T3_T4_jPT5_SO_PNS1_23onesweep_lookback_stateET6_jjj ; -- Begin function _ZN7rocprim17ROCPRIM_304000_NS6detail25onesweep_iteration_kernelINS1_34wrapped_radix_sort_onesweep_configINS0_14default_configEiN2at4cuda3cub6detail10OpaqueTypeILi1EEEEELb0EPKiPiPKSA_PSA_mNS0_19identity_decomposerEEEvT1_T2_T3_T4_jPT5_SO_PNS1_23onesweep_lookback_stateET6_jjj
	.globl	_ZN7rocprim17ROCPRIM_304000_NS6detail25onesweep_iteration_kernelINS1_34wrapped_radix_sort_onesweep_configINS0_14default_configEiN2at4cuda3cub6detail10OpaqueTypeILi1EEEEELb0EPKiPiPKSA_PSA_mNS0_19identity_decomposerEEEvT1_T2_T3_T4_jPT5_SO_PNS1_23onesweep_lookback_stateET6_jjj
	.p2align	8
	.type	_ZN7rocprim17ROCPRIM_304000_NS6detail25onesweep_iteration_kernelINS1_34wrapped_radix_sort_onesweep_configINS0_14default_configEiN2at4cuda3cub6detail10OpaqueTypeILi1EEEEELb0EPKiPiPKSA_PSA_mNS0_19identity_decomposerEEEvT1_T2_T3_T4_jPT5_SO_PNS1_23onesweep_lookback_stateET6_jjj,@function
_ZN7rocprim17ROCPRIM_304000_NS6detail25onesweep_iteration_kernelINS1_34wrapped_radix_sort_onesweep_configINS0_14default_configEiN2at4cuda3cub6detail10OpaqueTypeILi1EEEEELb0EPKiPiPKSA_PSA_mNS0_19identity_decomposerEEEvT1_T2_T3_T4_jPT5_SO_PNS1_23onesweep_lookback_stateET6_jjj: ; @_ZN7rocprim17ROCPRIM_304000_NS6detail25onesweep_iteration_kernelINS1_34wrapped_radix_sort_onesweep_configINS0_14default_configEiN2at4cuda3cub6detail10OpaqueTypeILi1EEEEELb0EPKiPiPKSA_PSA_mNS0_19identity_decomposerEEEvT1_T2_T3_T4_jPT5_SO_PNS1_23onesweep_lookback_stateET6_jjj
; %bb.0:
	s_clause 0x3
	s_load_b128 s[64:67], s[0:1], 0x44
	s_load_b256 s[52:59], s[0:1], 0x0
	s_load_b128 s[60:63], s[0:1], 0x28
	s_load_b64 s[68:69], s[0:1], 0x38
	v_and_b32_e32 v1, 0x3ff, v0
	v_mbcnt_lo_u32_b32 v11, -1, 0
	s_mul_i32 s50, s15, 0x2c00
	s_waitcnt lgkmcnt(0)
	s_cmp_ge_u32 s15, s66
	s_cbranch_scc0 .LBB24_224
; %bb.1:
	s_load_b32 s4, s[0:1], 0x20
	v_and_b32_e32 v12, 0x1e0, v1
	s_mov_b32 s51, 0
	s_mul_i32 s48, s66, 0xffffd400
	v_lshlrev_b32_e32 v2, 2, v11
	s_lshl_b64 s[2:3], s[50:51], 2
	v_mul_u32_u24_e32 v10, 22, v12
	v_bfrev_b32_e32 v14, -2
	v_bfrev_b32_e32 v13, -2
	s_delay_alu instid0(VALU_DEP_3)
	v_lshlrev_b32_e32 v3, 2, v10
	v_or_b32_e32 v15, v11, v10
	s_waitcnt lgkmcnt(0)
	s_add_i32 s48, s48, s4
	s_add_u32 s2, s52, s2
	s_addc_u32 s3, s53, s3
	v_add_co_u32 v2, s2, s2, v2
	s_delay_alu instid0(VALU_DEP_1) | instskip(SKIP_1) | instid1(VALU_DEP_3)
	v_add_co_ci_u32_e64 v4, null, s3, 0, s2
	v_cmp_gt_u32_e32 vcc_lo, s48, v15
	v_add_co_u32 v2, s2, v2, v3
	s_delay_alu instid0(VALU_DEP_1)
	v_add_co_ci_u32_e64 v3, s2, 0, v4, s2
	s_and_saveexec_b32 s2, vcc_lo
	s_cbranch_execz .LBB24_3
; %bb.2:
	global_load_b32 v13, v[2:3], off
.LBB24_3:
	s_or_b32 exec_lo, exec_lo, s2
	v_add_nc_u32_e32 v4, 32, v15
	s_delay_alu instid0(VALU_DEP_1) | instskip(NEXT) | instid1(VALU_DEP_1)
	v_cmp_gt_u32_e64 s2, s48, v4
	s_and_saveexec_b32 s3, s2
	s_cbranch_execz .LBB24_5
; %bb.4:
	global_load_b32 v14, v[2:3], off offset:128
.LBB24_5:
	s_or_b32 exec_lo, exec_lo, s3
	v_add_nc_u32_e32 v4, 64, v15
	v_bfrev_b32_e32 v22, -2
	v_bfrev_b32_e32 v18, -2
	s_delay_alu instid0(VALU_DEP_3) | instskip(NEXT) | instid1(VALU_DEP_1)
	v_cmp_gt_u32_e64 s3, s48, v4
	s_and_saveexec_b32 s4, s3
	s_cbranch_execz .LBB24_7
; %bb.6:
	global_load_b32 v18, v[2:3], off offset:256
.LBB24_7:
	s_or_b32 exec_lo, exec_lo, s4
	v_add_nc_u32_e32 v4, 0x60, v15
	s_delay_alu instid0(VALU_DEP_1) | instskip(NEXT) | instid1(VALU_DEP_1)
	v_cmp_gt_u32_e64 s4, s48, v4
	s_and_saveexec_b32 s5, s4
	s_cbranch_execz .LBB24_9
; %bb.8:
	global_load_b32 v22, v[2:3], off offset:384
.LBB24_9:
	s_or_b32 exec_lo, exec_lo, s5
	v_add_nc_u32_e32 v4, 0x80, v15
	v_bfrev_b32_e32 v30, -2
	v_bfrev_b32_e32 v26, -2
	s_delay_alu instid0(VALU_DEP_3) | instskip(NEXT) | instid1(VALU_DEP_1)
	v_cmp_gt_u32_e64 s5, s48, v4
	s_and_saveexec_b32 s6, s5
	s_cbranch_execz .LBB24_11
; %bb.10:
	global_load_b32 v26, v[2:3], off offset:512
.LBB24_11:
	;; [unrolled: 20-line block ×9, first 2 shown]
	s_or_b32 exec_lo, exec_lo, s21
	v_add_nc_u32_e32 v4, 0x260, v15
	s_delay_alu instid0(VALU_DEP_1) | instskip(NEXT) | instid1(VALU_DEP_1)
	v_cmp_gt_u32_e64 s21, s48, v4
	s_and_saveexec_b32 s22, s21
	s_cbranch_execz .LBB24_41
; %bb.40:
	global_load_b32 v6, v[2:3], off offset:2432
.LBB24_41:
	s_or_b32 exec_lo, exec_lo, s22
	v_add_nc_u32_e32 v5, 0x280, v15
	v_bfrev_b32_e32 v4, -2
	s_delay_alu instid0(VALU_DEP_2) | instskip(SKIP_1) | instid1(VALU_DEP_2)
	v_cmp_gt_u32_e64 s22, s48, v5
	v_bfrev_b32_e32 v5, -2
	s_and_saveexec_b32 s23, s22
	s_cbranch_execz .LBB24_43
; %bb.42:
	global_load_b32 v5, v[2:3], off offset:2560
.LBB24_43:
	s_or_b32 exec_lo, exec_lo, s23
	v_add_nc_u32_e32 v15, 0x2a0, v15
	s_delay_alu instid0(VALU_DEP_1) | instskip(NEXT) | instid1(VALU_DEP_1)
	v_cmp_gt_u32_e64 s23, s48, v15
	s_and_saveexec_b32 s24, s23
	s_cbranch_execz .LBB24_45
; %bb.44:
	global_load_b32 v4, v[2:3], off offset:2688
.LBB24_45:
	s_or_b32 exec_lo, exec_lo, s24
	s_clause 0x1
	s_load_b32 s24, s[0:1], 0x5c
	s_load_b32 s49, s[0:1], 0x50
	s_add_u32 s25, s0, 0x50
	s_addc_u32 s26, s1, 0
	v_mov_b32_e32 v17, 0
	s_waitcnt vmcnt(0)
	v_xor_b32_e32 v13, 0x80000000, v13
	s_delay_alu instid0(VALU_DEP_1) | instskip(SKIP_4) | instid1(SALU_CYCLE_1)
	v_lshrrev_b32_e32 v2, s64, v13
	s_waitcnt lgkmcnt(0)
	s_lshr_b32 s27, s24, 16
	s_cmp_lt_u32 s15, s49
	s_cselect_b32 s24, 12, 18
	s_add_u32 s24, s25, s24
	s_addc_u32 s25, s26, 0
	global_load_u16 v15, v17, s[24:25]
	s_lshl_b32 s24, -1, s65
	s_delay_alu instid0(SALU_CYCLE_1) | instskip(NEXT) | instid1(SALU_CYCLE_1)
	s_not_b32 s51, s24
	v_and_b32_e32 v19, s51, v2
	v_bfe_u32 v2, v0, 10, 10
	s_delay_alu instid0(VALU_DEP_2)
	v_lshlrev_b32_e32 v16, 30, v19
	v_and_b32_e32 v3, 1, v19
	v_lshlrev_b32_e32 v20, 29, v19
	v_lshlrev_b32_e32 v21, 28, v19
	;; [unrolled: 1-line block ×3, first 2 shown]
	v_not_b32_e32 v28, v16
	v_add_co_u32 v3, s24, v3, -1
	s_delay_alu instid0(VALU_DEP_1)
	v_cndmask_b32_e64 v23, 0, 1, s24
	v_cmp_gt_i32_e64 s25, 0, v16
	v_not_b32_e32 v16, v20
	v_ashrrev_i32_e32 v28, 31, v28
	v_lshlrev_b32_e32 v25, 26, v19
	v_cmp_ne_u32_e64 s24, 0, v23
	v_lshlrev_b32_e32 v27, 25, v19
	v_ashrrev_i32_e32 v16, 31, v16
	v_xor_b32_e32 v28, s25, v28
	v_cmp_gt_i32_e64 s25, 0, v21
	v_xor_b32_e32 v3, s24, v3
	v_cmp_gt_i32_e64 s24, 0, v20
	v_not_b32_e32 v20, v21
	v_not_b32_e32 v21, v24
	v_lshlrev_b32_e32 v23, 24, v19
	v_and_b32_e32 v3, exec_lo, v3
	v_xor_b32_e32 v16, s24, v16
	v_ashrrev_i32_e32 v20, 31, v20
	v_cmp_gt_i32_e64 s24, 0, v24
	v_not_b32_e32 v24, v25
	v_and_b32_e32 v3, v3, v28
	v_ashrrev_i32_e32 v21, 31, v21
	v_xor_b32_e32 v20, s25, v20
	v_cmp_gt_i32_e64 s25, 0, v25
	v_ashrrev_i32_e32 v24, 31, v24
	v_and_b32_e32 v3, v3, v16
	v_not_b32_e32 v16, v27
	v_xor_b32_e32 v21, s24, v21
	v_cmp_gt_i32_e64 s24, 0, v27
	v_xor_b32_e32 v24, s25, v24
	v_and_b32_e32 v3, v3, v20
	v_not_b32_e32 v20, v23
	v_ashrrev_i32_e32 v16, 31, v16
	v_cmp_gt_i32_e64 s25, 0, v23
	v_mul_u32_u24_e32 v23, 9, v1
	v_and_b32_e32 v3, v3, v21
	v_bfe_u32 v21, v0, 20, 10
	v_ashrrev_i32_e32 v20, 31, v20
	v_xor_b32_e32 v16, s24, v16
	s_delay_alu instid0(VALU_DEP_4) | instskip(NEXT) | instid1(VALU_DEP_4)
	v_and_b32_e32 v3, v3, v24
	v_mad_u32_u24 v21, v21, s27, v2
	s_delay_alu instid0(VALU_DEP_4) | instskip(NEXT) | instid1(VALU_DEP_3)
	v_xor_b32_e32 v20, s25, v20
	v_and_b32_e32 v24, v3, v16
	v_lshlrev_b32_e32 v16, 2, v23
	ds_store_2addr_b32 v16, v17, v17 offset0:16 offset1:17
	ds_store_2addr_b32 v16, v17, v17 offset0:18 offset1:19
	;; [unrolled: 1-line block ×4, first 2 shown]
	ds_store_b32 v16, v17 offset:96
	v_lshl_add_u32 v17, v19, 4, v19
	s_waitcnt vmcnt(0) lgkmcnt(0)
	s_barrier
	buffer_gl0_inv
	; wave barrier
	v_mad_u64_u32 v[2:3], null, v21, v15, v[1:2]
	v_and_b32_e32 v3, v24, v20
	s_delay_alu instid0(VALU_DEP_1) | instskip(NEXT) | instid1(VALU_DEP_3)
	v_mbcnt_lo_u32_b32 v15, v3, 0
	v_lshrrev_b32_e32 v2, 5, v2
	v_cmp_ne_u32_e64 s25, 0, v3
	s_delay_alu instid0(VALU_DEP_3) | instskip(NEXT) | instid1(VALU_DEP_3)
	v_cmp_eq_u32_e64 s24, 0, v15
	v_add_lshl_u32 v17, v2, v17, 2
	s_delay_alu instid0(VALU_DEP_2) | instskip(NEXT) | instid1(SALU_CYCLE_1)
	s_and_b32 s25, s25, s24
	s_and_saveexec_b32 s24, s25
	s_cbranch_execz .LBB24_47
; %bb.46:
	v_bcnt_u32_b32 v3, v3, 0
	ds_store_b32 v17, v3 offset:64
.LBB24_47:
	s_or_b32 exec_lo, exec_lo, s24
	v_xor_b32_e32 v14, 0x80000000, v14
	; wave barrier
	s_delay_alu instid0(VALU_DEP_1) | instskip(NEXT) | instid1(VALU_DEP_1)
	v_lshrrev_b32_e32 v3, s64, v14
	v_and_b32_e32 v3, s51, v3
	s_delay_alu instid0(VALU_DEP_1)
	v_and_b32_e32 v19, 1, v3
	v_lshlrev_b32_e32 v20, 30, v3
	v_lshlrev_b32_e32 v21, 29, v3
	;; [unrolled: 1-line block ×4, first 2 shown]
	v_add_co_u32 v19, s24, v19, -1
	s_delay_alu instid0(VALU_DEP_1)
	v_cndmask_b32_e64 v24, 0, 1, s24
	v_not_b32_e32 v29, v20
	v_cmp_gt_i32_e64 s25, 0, v20
	v_not_b32_e32 v20, v21
	v_lshlrev_b32_e32 v27, 26, v3
	v_cmp_ne_u32_e64 s24, 0, v24
	v_ashrrev_i32_e32 v29, 31, v29
	v_lshlrev_b32_e32 v28, 25, v3
	v_ashrrev_i32_e32 v20, 31, v20
	v_lshlrev_b32_e32 v24, 24, v3
	v_xor_b32_e32 v19, s24, v19
	v_cmp_gt_i32_e64 s24, 0, v21
	v_not_b32_e32 v21, v23
	v_xor_b32_e32 v29, s25, v29
	v_cmp_gt_i32_e64 s25, 0, v23
	v_and_b32_e32 v19, exec_lo, v19
	v_not_b32_e32 v23, v25
	v_ashrrev_i32_e32 v21, 31, v21
	v_xor_b32_e32 v20, s24, v20
	v_cmp_gt_i32_e64 s24, 0, v25
	v_and_b32_e32 v19, v19, v29
	v_not_b32_e32 v25, v27
	v_ashrrev_i32_e32 v23, 31, v23
	v_xor_b32_e32 v21, s25, v21
	v_cmp_gt_i32_e64 s25, 0, v27
	v_and_b32_e32 v19, v19, v20
	;; [unrolled: 5-line block ×3, first 2 shown]
	v_not_b32_e32 v21, v24
	v_ashrrev_i32_e32 v20, 31, v20
	v_xor_b32_e32 v25, s25, v25
	v_lshl_add_u32 v3, v3, 4, v3
	v_and_b32_e32 v19, v19, v23
	v_cmp_gt_i32_e64 s25, 0, v24
	v_ashrrev_i32_e32 v23, 31, v21
	v_xor_b32_e32 v20, s24, v20
	v_add_lshl_u32 v21, v2, v3, 2
	v_and_b32_e32 v19, v19, v25
	s_delay_alu instid0(VALU_DEP_4) | instskip(NEXT) | instid1(VALU_DEP_2)
	v_xor_b32_e32 v3, s25, v23
	v_and_b32_e32 v20, v19, v20
	ds_load_b32 v19, v21 offset:64
	; wave barrier
	v_and_b32_e32 v3, v20, v3
	s_delay_alu instid0(VALU_DEP_1) | instskip(SKIP_1) | instid1(VALU_DEP_2)
	v_mbcnt_lo_u32_b32 v20, v3, 0
	v_cmp_ne_u32_e64 s25, 0, v3
	v_cmp_eq_u32_e64 s24, 0, v20
	s_delay_alu instid0(VALU_DEP_1) | instskip(NEXT) | instid1(SALU_CYCLE_1)
	s_and_b32 s25, s25, s24
	s_and_saveexec_b32 s24, s25
	s_cbranch_execz .LBB24_49
; %bb.48:
	s_waitcnt lgkmcnt(0)
	v_bcnt_u32_b32 v3, v3, v19
	ds_store_b32 v21, v3 offset:64
.LBB24_49:
	s_or_b32 exec_lo, exec_lo, s24
	v_xor_b32_e32 v18, 0x80000000, v18
	; wave barrier
	s_delay_alu instid0(VALU_DEP_1) | instskip(NEXT) | instid1(VALU_DEP_1)
	v_lshrrev_b32_e32 v3, s64, v18
	v_and_b32_e32 v3, s51, v3
	s_delay_alu instid0(VALU_DEP_1)
	v_and_b32_e32 v23, 1, v3
	v_lshlrev_b32_e32 v24, 30, v3
	v_lshlrev_b32_e32 v25, 29, v3
	;; [unrolled: 1-line block ×4, first 2 shown]
	v_add_co_u32 v23, s24, v23, -1
	s_delay_alu instid0(VALU_DEP_1)
	v_cndmask_b32_e64 v28, 0, 1, s24
	v_not_b32_e32 v33, v24
	v_cmp_gt_i32_e64 s25, 0, v24
	v_not_b32_e32 v24, v25
	v_lshlrev_b32_e32 v31, 26, v3
	v_cmp_ne_u32_e64 s24, 0, v28
	v_ashrrev_i32_e32 v33, 31, v33
	v_lshlrev_b32_e32 v32, 25, v3
	v_ashrrev_i32_e32 v24, 31, v24
	v_lshlrev_b32_e32 v28, 24, v3
	v_xor_b32_e32 v23, s24, v23
	v_cmp_gt_i32_e64 s24, 0, v25
	v_not_b32_e32 v25, v27
	v_xor_b32_e32 v33, s25, v33
	v_cmp_gt_i32_e64 s25, 0, v27
	v_and_b32_e32 v23, exec_lo, v23
	v_not_b32_e32 v27, v29
	v_ashrrev_i32_e32 v25, 31, v25
	v_xor_b32_e32 v24, s24, v24
	v_cmp_gt_i32_e64 s24, 0, v29
	v_and_b32_e32 v23, v23, v33
	v_not_b32_e32 v29, v31
	v_ashrrev_i32_e32 v27, 31, v27
	v_xor_b32_e32 v25, s25, v25
	v_cmp_gt_i32_e64 s25, 0, v31
	v_and_b32_e32 v23, v23, v24
	;; [unrolled: 5-line block ×3, first 2 shown]
	v_not_b32_e32 v25, v28
	v_ashrrev_i32_e32 v24, 31, v24
	v_xor_b32_e32 v29, s25, v29
	v_lshl_add_u32 v3, v3, 4, v3
	v_and_b32_e32 v23, v23, v27
	v_cmp_gt_i32_e64 s25, 0, v28
	v_ashrrev_i32_e32 v27, 31, v25
	v_xor_b32_e32 v24, s24, v24
	v_add_lshl_u32 v25, v2, v3, 2
	v_and_b32_e32 v23, v23, v29
	s_delay_alu instid0(VALU_DEP_4) | instskip(NEXT) | instid1(VALU_DEP_2)
	v_xor_b32_e32 v3, s25, v27
	v_and_b32_e32 v24, v23, v24
	ds_load_b32 v23, v25 offset:64
	; wave barrier
	v_and_b32_e32 v3, v24, v3
	s_delay_alu instid0(VALU_DEP_1) | instskip(SKIP_1) | instid1(VALU_DEP_2)
	v_mbcnt_lo_u32_b32 v24, v3, 0
	v_cmp_ne_u32_e64 s25, 0, v3
	v_cmp_eq_u32_e64 s24, 0, v24
	s_delay_alu instid0(VALU_DEP_1) | instskip(NEXT) | instid1(SALU_CYCLE_1)
	s_and_b32 s25, s25, s24
	s_and_saveexec_b32 s24, s25
	s_cbranch_execz .LBB24_51
; %bb.50:
	s_waitcnt lgkmcnt(0)
	v_bcnt_u32_b32 v3, v3, v23
	ds_store_b32 v25, v3 offset:64
.LBB24_51:
	s_or_b32 exec_lo, exec_lo, s24
	v_xor_b32_e32 v22, 0x80000000, v22
	; wave barrier
	s_delay_alu instid0(VALU_DEP_1) | instskip(NEXT) | instid1(VALU_DEP_1)
	v_lshrrev_b32_e32 v3, s64, v22
	v_and_b32_e32 v3, s51, v3
	s_delay_alu instid0(VALU_DEP_1)
	v_and_b32_e32 v27, 1, v3
	v_lshlrev_b32_e32 v28, 30, v3
	v_lshlrev_b32_e32 v29, 29, v3
	;; [unrolled: 1-line block ×4, first 2 shown]
	v_add_co_u32 v27, s24, v27, -1
	s_delay_alu instid0(VALU_DEP_1)
	v_cndmask_b32_e64 v32, 0, 1, s24
	v_not_b32_e32 v37, v28
	v_cmp_gt_i32_e64 s25, 0, v28
	v_not_b32_e32 v28, v29
	v_lshlrev_b32_e32 v35, 26, v3
	v_cmp_ne_u32_e64 s24, 0, v32
	v_ashrrev_i32_e32 v37, 31, v37
	v_lshlrev_b32_e32 v36, 25, v3
	v_ashrrev_i32_e32 v28, 31, v28
	v_lshlrev_b32_e32 v32, 24, v3
	v_xor_b32_e32 v27, s24, v27
	v_cmp_gt_i32_e64 s24, 0, v29
	v_not_b32_e32 v29, v31
	v_xor_b32_e32 v37, s25, v37
	v_cmp_gt_i32_e64 s25, 0, v31
	v_and_b32_e32 v27, exec_lo, v27
	v_not_b32_e32 v31, v33
	v_ashrrev_i32_e32 v29, 31, v29
	v_xor_b32_e32 v28, s24, v28
	v_cmp_gt_i32_e64 s24, 0, v33
	v_and_b32_e32 v27, v27, v37
	v_not_b32_e32 v33, v35
	v_ashrrev_i32_e32 v31, 31, v31
	v_xor_b32_e32 v29, s25, v29
	v_cmp_gt_i32_e64 s25, 0, v35
	v_and_b32_e32 v27, v27, v28
	;; [unrolled: 5-line block ×3, first 2 shown]
	v_not_b32_e32 v29, v32
	v_ashrrev_i32_e32 v28, 31, v28
	v_xor_b32_e32 v33, s25, v33
	v_lshl_add_u32 v3, v3, 4, v3
	v_and_b32_e32 v27, v27, v31
	v_cmp_gt_i32_e64 s25, 0, v32
	v_ashrrev_i32_e32 v31, 31, v29
	v_xor_b32_e32 v28, s24, v28
	v_add_lshl_u32 v29, v2, v3, 2
	v_and_b32_e32 v27, v27, v33
	s_delay_alu instid0(VALU_DEP_4) | instskip(NEXT) | instid1(VALU_DEP_2)
	v_xor_b32_e32 v3, s25, v31
	v_and_b32_e32 v28, v27, v28
	ds_load_b32 v27, v29 offset:64
	; wave barrier
	v_and_b32_e32 v3, v28, v3
	s_delay_alu instid0(VALU_DEP_1) | instskip(SKIP_1) | instid1(VALU_DEP_2)
	v_mbcnt_lo_u32_b32 v28, v3, 0
	v_cmp_ne_u32_e64 s25, 0, v3
	v_cmp_eq_u32_e64 s24, 0, v28
	s_delay_alu instid0(VALU_DEP_1) | instskip(NEXT) | instid1(SALU_CYCLE_1)
	s_and_b32 s25, s25, s24
	s_and_saveexec_b32 s24, s25
	s_cbranch_execz .LBB24_53
; %bb.52:
	s_waitcnt lgkmcnt(0)
	v_bcnt_u32_b32 v3, v3, v27
	ds_store_b32 v29, v3 offset:64
.LBB24_53:
	s_or_b32 exec_lo, exec_lo, s24
	v_xor_b32_e32 v26, 0x80000000, v26
	; wave barrier
	s_delay_alu instid0(VALU_DEP_1) | instskip(NEXT) | instid1(VALU_DEP_1)
	v_lshrrev_b32_e32 v3, s64, v26
	v_and_b32_e32 v3, s51, v3
	s_delay_alu instid0(VALU_DEP_1)
	v_and_b32_e32 v31, 1, v3
	v_lshlrev_b32_e32 v32, 30, v3
	v_lshlrev_b32_e32 v33, 29, v3
	;; [unrolled: 1-line block ×4, first 2 shown]
	v_add_co_u32 v31, s24, v31, -1
	s_delay_alu instid0(VALU_DEP_1)
	v_cndmask_b32_e64 v36, 0, 1, s24
	v_not_b32_e32 v41, v32
	v_cmp_gt_i32_e64 s25, 0, v32
	v_not_b32_e32 v32, v33
	v_lshlrev_b32_e32 v39, 26, v3
	v_cmp_ne_u32_e64 s24, 0, v36
	v_ashrrev_i32_e32 v41, 31, v41
	v_lshlrev_b32_e32 v40, 25, v3
	v_ashrrev_i32_e32 v32, 31, v32
	v_lshlrev_b32_e32 v36, 24, v3
	v_xor_b32_e32 v31, s24, v31
	v_cmp_gt_i32_e64 s24, 0, v33
	v_not_b32_e32 v33, v35
	v_xor_b32_e32 v41, s25, v41
	v_cmp_gt_i32_e64 s25, 0, v35
	v_and_b32_e32 v31, exec_lo, v31
	v_not_b32_e32 v35, v37
	v_ashrrev_i32_e32 v33, 31, v33
	v_xor_b32_e32 v32, s24, v32
	v_cmp_gt_i32_e64 s24, 0, v37
	v_and_b32_e32 v31, v31, v41
	v_not_b32_e32 v37, v39
	v_ashrrev_i32_e32 v35, 31, v35
	v_xor_b32_e32 v33, s25, v33
	v_cmp_gt_i32_e64 s25, 0, v39
	v_and_b32_e32 v31, v31, v32
	;; [unrolled: 5-line block ×3, first 2 shown]
	v_not_b32_e32 v33, v36
	v_ashrrev_i32_e32 v32, 31, v32
	v_xor_b32_e32 v37, s25, v37
	v_lshl_add_u32 v3, v3, 4, v3
	v_and_b32_e32 v31, v31, v35
	v_cmp_gt_i32_e64 s25, 0, v36
	v_ashrrev_i32_e32 v35, 31, v33
	v_xor_b32_e32 v32, s24, v32
	v_add_lshl_u32 v33, v2, v3, 2
	v_and_b32_e32 v31, v31, v37
	s_delay_alu instid0(VALU_DEP_4) | instskip(NEXT) | instid1(VALU_DEP_2)
	v_xor_b32_e32 v3, s25, v35
	v_and_b32_e32 v32, v31, v32
	ds_load_b32 v31, v33 offset:64
	; wave barrier
	v_and_b32_e32 v3, v32, v3
	s_delay_alu instid0(VALU_DEP_1) | instskip(SKIP_1) | instid1(VALU_DEP_2)
	v_mbcnt_lo_u32_b32 v32, v3, 0
	v_cmp_ne_u32_e64 s25, 0, v3
	v_cmp_eq_u32_e64 s24, 0, v32
	s_delay_alu instid0(VALU_DEP_1) | instskip(NEXT) | instid1(SALU_CYCLE_1)
	s_and_b32 s25, s25, s24
	s_and_saveexec_b32 s24, s25
	s_cbranch_execz .LBB24_55
; %bb.54:
	s_waitcnt lgkmcnt(0)
	v_bcnt_u32_b32 v3, v3, v31
	ds_store_b32 v33, v3 offset:64
.LBB24_55:
	s_or_b32 exec_lo, exec_lo, s24
	v_xor_b32_e32 v30, 0x80000000, v30
	; wave barrier
	s_delay_alu instid0(VALU_DEP_1) | instskip(NEXT) | instid1(VALU_DEP_1)
	v_lshrrev_b32_e32 v3, s64, v30
	v_and_b32_e32 v3, s51, v3
	s_delay_alu instid0(VALU_DEP_1)
	v_and_b32_e32 v35, 1, v3
	v_lshlrev_b32_e32 v36, 30, v3
	v_lshlrev_b32_e32 v37, 29, v3
	;; [unrolled: 1-line block ×4, first 2 shown]
	v_add_co_u32 v35, s24, v35, -1
	s_delay_alu instid0(VALU_DEP_1)
	v_cndmask_b32_e64 v40, 0, 1, s24
	v_not_b32_e32 v46, v36
	v_cmp_gt_i32_e64 s25, 0, v36
	v_not_b32_e32 v36, v37
	v_lshlrev_b32_e32 v44, 26, v3
	v_cmp_ne_u32_e64 s24, 0, v40
	v_ashrrev_i32_e32 v46, 31, v46
	v_lshlrev_b32_e32 v45, 25, v3
	v_ashrrev_i32_e32 v36, 31, v36
	v_lshlrev_b32_e32 v40, 24, v3
	v_xor_b32_e32 v35, s24, v35
	v_cmp_gt_i32_e64 s24, 0, v37
	v_not_b32_e32 v37, v39
	v_xor_b32_e32 v46, s25, v46
	v_cmp_gt_i32_e64 s25, 0, v39
	v_and_b32_e32 v35, exec_lo, v35
	v_not_b32_e32 v39, v41
	v_ashrrev_i32_e32 v37, 31, v37
	v_xor_b32_e32 v36, s24, v36
	v_cmp_gt_i32_e64 s24, 0, v41
	v_and_b32_e32 v35, v35, v46
	v_not_b32_e32 v41, v44
	v_ashrrev_i32_e32 v39, 31, v39
	v_xor_b32_e32 v37, s25, v37
	v_cmp_gt_i32_e64 s25, 0, v44
	v_and_b32_e32 v35, v35, v36
	;; [unrolled: 5-line block ×3, first 2 shown]
	v_not_b32_e32 v37, v40
	v_ashrrev_i32_e32 v36, 31, v36
	v_xor_b32_e32 v41, s25, v41
	v_lshl_add_u32 v3, v3, 4, v3
	v_and_b32_e32 v35, v35, v39
	v_cmp_gt_i32_e64 s25, 0, v40
	v_ashrrev_i32_e32 v39, 31, v37
	v_xor_b32_e32 v36, s24, v36
	v_add_lshl_u32 v37, v2, v3, 2
	v_and_b32_e32 v35, v35, v41
	s_delay_alu instid0(VALU_DEP_4) | instskip(NEXT) | instid1(VALU_DEP_2)
	v_xor_b32_e32 v3, s25, v39
	v_and_b32_e32 v36, v35, v36
	ds_load_b32 v35, v37 offset:64
	; wave barrier
	v_and_b32_e32 v3, v36, v3
	s_delay_alu instid0(VALU_DEP_1) | instskip(SKIP_1) | instid1(VALU_DEP_2)
	v_mbcnt_lo_u32_b32 v36, v3, 0
	v_cmp_ne_u32_e64 s25, 0, v3
	v_cmp_eq_u32_e64 s24, 0, v36
	s_delay_alu instid0(VALU_DEP_1) | instskip(NEXT) | instid1(SALU_CYCLE_1)
	s_and_b32 s25, s25, s24
	s_and_saveexec_b32 s24, s25
	s_cbranch_execz .LBB24_57
; %bb.56:
	s_waitcnt lgkmcnt(0)
	v_bcnt_u32_b32 v3, v3, v35
	ds_store_b32 v37, v3 offset:64
.LBB24_57:
	s_or_b32 exec_lo, exec_lo, s24
	v_xor_b32_e32 v34, 0x80000000, v34
	; wave barrier
	s_delay_alu instid0(VALU_DEP_1) | instskip(NEXT) | instid1(VALU_DEP_1)
	v_lshrrev_b32_e32 v3, s64, v34
	v_and_b32_e32 v3, s51, v3
	s_delay_alu instid0(VALU_DEP_1)
	v_and_b32_e32 v39, 1, v3
	v_lshlrev_b32_e32 v40, 30, v3
	v_lshlrev_b32_e32 v41, 29, v3
	;; [unrolled: 1-line block ×4, first 2 shown]
	v_add_co_u32 v39, s24, v39, -1
	s_delay_alu instid0(VALU_DEP_1)
	v_cndmask_b32_e64 v45, 0, 1, s24
	v_not_b32_e32 v52, v40
	v_cmp_gt_i32_e64 s25, 0, v40
	v_not_b32_e32 v40, v41
	v_lshlrev_b32_e32 v49, 26, v3
	v_cmp_ne_u32_e64 s24, 0, v45
	v_ashrrev_i32_e32 v52, 31, v52
	v_lshlrev_b32_e32 v50, 25, v3
	v_ashrrev_i32_e32 v40, 31, v40
	v_lshlrev_b32_e32 v45, 24, v3
	v_xor_b32_e32 v39, s24, v39
	v_cmp_gt_i32_e64 s24, 0, v41
	v_not_b32_e32 v41, v44
	v_xor_b32_e32 v52, s25, v52
	v_cmp_gt_i32_e64 s25, 0, v44
	v_and_b32_e32 v39, exec_lo, v39
	v_not_b32_e32 v44, v46
	v_ashrrev_i32_e32 v41, 31, v41
	v_xor_b32_e32 v40, s24, v40
	v_cmp_gt_i32_e64 s24, 0, v46
	v_and_b32_e32 v39, v39, v52
	v_not_b32_e32 v46, v49
	v_ashrrev_i32_e32 v44, 31, v44
	v_xor_b32_e32 v41, s25, v41
	v_cmp_gt_i32_e64 s25, 0, v49
	v_and_b32_e32 v39, v39, v40
	;; [unrolled: 5-line block ×3, first 2 shown]
	v_not_b32_e32 v41, v45
	v_ashrrev_i32_e32 v40, 31, v40
	v_xor_b32_e32 v46, s25, v46
	v_lshl_add_u32 v3, v3, 4, v3
	v_and_b32_e32 v39, v39, v44
	v_cmp_gt_i32_e64 s25, 0, v45
	v_ashrrev_i32_e32 v44, 31, v41
	v_xor_b32_e32 v40, s24, v40
	v_add_lshl_u32 v41, v2, v3, 2
	v_and_b32_e32 v39, v39, v46
	s_delay_alu instid0(VALU_DEP_4) | instskip(NEXT) | instid1(VALU_DEP_2)
	v_xor_b32_e32 v3, s25, v44
	v_and_b32_e32 v40, v39, v40
	ds_load_b32 v39, v41 offset:64
	; wave barrier
	v_and_b32_e32 v3, v40, v3
	s_delay_alu instid0(VALU_DEP_1) | instskip(SKIP_1) | instid1(VALU_DEP_2)
	v_mbcnt_lo_u32_b32 v40, v3, 0
	v_cmp_ne_u32_e64 s25, 0, v3
	v_cmp_eq_u32_e64 s24, 0, v40
	s_delay_alu instid0(VALU_DEP_1) | instskip(NEXT) | instid1(SALU_CYCLE_1)
	s_and_b32 s25, s25, s24
	s_and_saveexec_b32 s24, s25
	s_cbranch_execz .LBB24_59
; %bb.58:
	s_waitcnt lgkmcnt(0)
	v_bcnt_u32_b32 v3, v3, v39
	ds_store_b32 v41, v3 offset:64
.LBB24_59:
	s_or_b32 exec_lo, exec_lo, s24
	v_xor_b32_e32 v38, 0x80000000, v38
	; wave barrier
	s_delay_alu instid0(VALU_DEP_1) | instskip(NEXT) | instid1(VALU_DEP_1)
	v_lshrrev_b32_e32 v3, s64, v38
	v_and_b32_e32 v3, s51, v3
	s_delay_alu instid0(VALU_DEP_1)
	v_and_b32_e32 v44, 1, v3
	v_lshlrev_b32_e32 v45, 30, v3
	v_lshlrev_b32_e32 v46, 29, v3
	;; [unrolled: 1-line block ×4, first 2 shown]
	v_add_co_u32 v44, s24, v44, -1
	s_delay_alu instid0(VALU_DEP_1)
	v_cndmask_b32_e64 v50, 0, 1, s24
	v_not_b32_e32 v57, v45
	v_cmp_gt_i32_e64 s25, 0, v45
	v_not_b32_e32 v45, v46
	v_lshlrev_b32_e32 v54, 26, v3
	v_cmp_ne_u32_e64 s24, 0, v50
	v_ashrrev_i32_e32 v57, 31, v57
	v_lshlrev_b32_e32 v55, 25, v3
	v_ashrrev_i32_e32 v45, 31, v45
	v_lshlrev_b32_e32 v50, 24, v3
	v_xor_b32_e32 v44, s24, v44
	v_cmp_gt_i32_e64 s24, 0, v46
	v_not_b32_e32 v46, v49
	v_xor_b32_e32 v57, s25, v57
	v_cmp_gt_i32_e64 s25, 0, v49
	v_and_b32_e32 v44, exec_lo, v44
	v_not_b32_e32 v49, v52
	v_ashrrev_i32_e32 v46, 31, v46
	v_xor_b32_e32 v45, s24, v45
	v_cmp_gt_i32_e64 s24, 0, v52
	v_and_b32_e32 v44, v44, v57
	v_not_b32_e32 v52, v54
	v_ashrrev_i32_e32 v49, 31, v49
	v_xor_b32_e32 v46, s25, v46
	v_cmp_gt_i32_e64 s25, 0, v54
	v_and_b32_e32 v44, v44, v45
	;; [unrolled: 5-line block ×3, first 2 shown]
	v_not_b32_e32 v46, v50
	v_ashrrev_i32_e32 v45, 31, v45
	v_xor_b32_e32 v52, s25, v52
	v_lshl_add_u32 v3, v3, 4, v3
	v_and_b32_e32 v44, v44, v49
	v_cmp_gt_i32_e64 s25, 0, v50
	v_ashrrev_i32_e32 v49, 31, v46
	v_xor_b32_e32 v45, s24, v45
	v_add_lshl_u32 v46, v2, v3, 2
	v_and_b32_e32 v44, v44, v52
	s_delay_alu instid0(VALU_DEP_4) | instskip(NEXT) | instid1(VALU_DEP_2)
	v_xor_b32_e32 v3, s25, v49
	v_and_b32_e32 v45, v44, v45
	ds_load_b32 v44, v46 offset:64
	; wave barrier
	v_and_b32_e32 v3, v45, v3
	s_delay_alu instid0(VALU_DEP_1) | instskip(SKIP_1) | instid1(VALU_DEP_2)
	v_mbcnt_lo_u32_b32 v45, v3, 0
	v_cmp_ne_u32_e64 s25, 0, v3
	v_cmp_eq_u32_e64 s24, 0, v45
	s_delay_alu instid0(VALU_DEP_1) | instskip(NEXT) | instid1(SALU_CYCLE_1)
	s_and_b32 s25, s25, s24
	s_and_saveexec_b32 s24, s25
	s_cbranch_execz .LBB24_61
; %bb.60:
	s_waitcnt lgkmcnt(0)
	v_bcnt_u32_b32 v3, v3, v44
	ds_store_b32 v46, v3 offset:64
.LBB24_61:
	s_or_b32 exec_lo, exec_lo, s24
	v_xor_b32_e32 v43, 0x80000000, v43
	; wave barrier
	s_delay_alu instid0(VALU_DEP_1) | instskip(NEXT) | instid1(VALU_DEP_1)
	v_lshrrev_b32_e32 v3, s64, v43
	v_and_b32_e32 v3, s51, v3
	s_delay_alu instid0(VALU_DEP_1)
	v_and_b32_e32 v49, 1, v3
	v_lshlrev_b32_e32 v50, 30, v3
	v_lshlrev_b32_e32 v52, 29, v3
	v_lshlrev_b32_e32 v54, 28, v3
	v_lshlrev_b32_e32 v57, 27, v3
	v_add_co_u32 v49, s24, v49, -1
	s_delay_alu instid0(VALU_DEP_1)
	v_cndmask_b32_e64 v55, 0, 1, s24
	v_not_b32_e32 v61, v50
	v_cmp_gt_i32_e64 s25, 0, v50
	v_not_b32_e32 v50, v52
	v_lshlrev_b32_e32 v59, 26, v3
	v_cmp_ne_u32_e64 s24, 0, v55
	v_ashrrev_i32_e32 v61, 31, v61
	v_lshlrev_b32_e32 v60, 25, v3
	v_ashrrev_i32_e32 v50, 31, v50
	v_lshlrev_b32_e32 v55, 24, v3
	v_xor_b32_e32 v49, s24, v49
	v_cmp_gt_i32_e64 s24, 0, v52
	v_not_b32_e32 v52, v54
	v_xor_b32_e32 v61, s25, v61
	v_cmp_gt_i32_e64 s25, 0, v54
	v_and_b32_e32 v49, exec_lo, v49
	v_not_b32_e32 v54, v57
	v_ashrrev_i32_e32 v52, 31, v52
	v_xor_b32_e32 v50, s24, v50
	v_cmp_gt_i32_e64 s24, 0, v57
	v_and_b32_e32 v49, v49, v61
	v_not_b32_e32 v57, v59
	v_ashrrev_i32_e32 v54, 31, v54
	v_xor_b32_e32 v52, s25, v52
	v_cmp_gt_i32_e64 s25, 0, v59
	v_and_b32_e32 v49, v49, v50
	;; [unrolled: 5-line block ×3, first 2 shown]
	v_not_b32_e32 v52, v55
	v_ashrrev_i32_e32 v50, 31, v50
	v_xor_b32_e32 v57, s25, v57
	v_lshl_add_u32 v3, v3, 4, v3
	v_and_b32_e32 v49, v49, v54
	v_cmp_gt_i32_e64 s25, 0, v55
	v_ashrrev_i32_e32 v54, 31, v52
	v_xor_b32_e32 v50, s24, v50
	v_add_lshl_u32 v52, v2, v3, 2
	v_and_b32_e32 v49, v49, v57
	s_delay_alu instid0(VALU_DEP_4) | instskip(NEXT) | instid1(VALU_DEP_2)
	v_xor_b32_e32 v3, s25, v54
	v_and_b32_e32 v50, v49, v50
	ds_load_b32 v49, v52 offset:64
	; wave barrier
	v_and_b32_e32 v3, v50, v3
	s_delay_alu instid0(VALU_DEP_1) | instskip(SKIP_1) | instid1(VALU_DEP_2)
	v_mbcnt_lo_u32_b32 v50, v3, 0
	v_cmp_ne_u32_e64 s25, 0, v3
	v_cmp_eq_u32_e64 s24, 0, v50
	s_delay_alu instid0(VALU_DEP_1) | instskip(NEXT) | instid1(SALU_CYCLE_1)
	s_and_b32 s25, s25, s24
	s_and_saveexec_b32 s24, s25
	s_cbranch_execz .LBB24_63
; %bb.62:
	s_waitcnt lgkmcnt(0)
	v_bcnt_u32_b32 v3, v3, v49
	ds_store_b32 v52, v3 offset:64
.LBB24_63:
	s_or_b32 exec_lo, exec_lo, s24
	v_xor_b32_e32 v48, 0x80000000, v48
	; wave barrier
	s_delay_alu instid0(VALU_DEP_1) | instskip(NEXT) | instid1(VALU_DEP_1)
	v_lshrrev_b32_e32 v3, s64, v48
	v_and_b32_e32 v3, s51, v3
	s_delay_alu instid0(VALU_DEP_1)
	v_and_b32_e32 v54, 1, v3
	v_lshlrev_b32_e32 v55, 30, v3
	v_lshlrev_b32_e32 v57, 29, v3
	;; [unrolled: 1-line block ×4, first 2 shown]
	v_add_co_u32 v54, s24, v54, -1
	s_delay_alu instid0(VALU_DEP_1)
	v_cndmask_b32_e64 v60, 0, 1, s24
	v_not_b32_e32 v64, v55
	v_cmp_gt_i32_e64 s25, 0, v55
	v_not_b32_e32 v55, v57
	v_lshlrev_b32_e32 v62, 26, v3
	v_cmp_ne_u32_e64 s24, 0, v60
	v_ashrrev_i32_e32 v64, 31, v64
	v_lshlrev_b32_e32 v63, 25, v3
	v_ashrrev_i32_e32 v55, 31, v55
	v_lshlrev_b32_e32 v60, 24, v3
	v_xor_b32_e32 v54, s24, v54
	v_cmp_gt_i32_e64 s24, 0, v57
	v_not_b32_e32 v57, v59
	v_xor_b32_e32 v64, s25, v64
	v_cmp_gt_i32_e64 s25, 0, v59
	v_and_b32_e32 v54, exec_lo, v54
	v_not_b32_e32 v59, v61
	v_ashrrev_i32_e32 v57, 31, v57
	v_xor_b32_e32 v55, s24, v55
	v_cmp_gt_i32_e64 s24, 0, v61
	v_and_b32_e32 v54, v54, v64
	v_not_b32_e32 v61, v62
	v_ashrrev_i32_e32 v59, 31, v59
	v_xor_b32_e32 v57, s25, v57
	v_cmp_gt_i32_e64 s25, 0, v62
	v_and_b32_e32 v54, v54, v55
	;; [unrolled: 5-line block ×3, first 2 shown]
	v_not_b32_e32 v57, v60
	v_ashrrev_i32_e32 v55, 31, v55
	v_xor_b32_e32 v61, s25, v61
	v_lshl_add_u32 v3, v3, 4, v3
	v_and_b32_e32 v54, v54, v59
	v_cmp_gt_i32_e64 s25, 0, v60
	v_ashrrev_i32_e32 v59, 31, v57
	v_xor_b32_e32 v55, s24, v55
	v_add_lshl_u32 v57, v2, v3, 2
	v_and_b32_e32 v54, v54, v61
	s_delay_alu instid0(VALU_DEP_4) | instskip(NEXT) | instid1(VALU_DEP_2)
	v_xor_b32_e32 v3, s25, v59
	v_and_b32_e32 v55, v54, v55
	ds_load_b32 v54, v57 offset:64
	; wave barrier
	v_and_b32_e32 v3, v55, v3
	s_delay_alu instid0(VALU_DEP_1) | instskip(SKIP_1) | instid1(VALU_DEP_2)
	v_mbcnt_lo_u32_b32 v55, v3, 0
	v_cmp_ne_u32_e64 s25, 0, v3
	v_cmp_eq_u32_e64 s24, 0, v55
	s_delay_alu instid0(VALU_DEP_1) | instskip(NEXT) | instid1(SALU_CYCLE_1)
	s_and_b32 s25, s25, s24
	s_and_saveexec_b32 s24, s25
	s_cbranch_execz .LBB24_65
; %bb.64:
	s_waitcnt lgkmcnt(0)
	v_bcnt_u32_b32 v3, v3, v54
	ds_store_b32 v57, v3 offset:64
.LBB24_65:
	s_or_b32 exec_lo, exec_lo, s24
	v_xor_b32_e32 v53, 0x80000000, v53
	; wave barrier
	s_delay_alu instid0(VALU_DEP_1) | instskip(NEXT) | instid1(VALU_DEP_1)
	v_lshrrev_b32_e32 v3, s64, v53
	v_and_b32_e32 v3, s51, v3
	s_delay_alu instid0(VALU_DEP_1)
	v_and_b32_e32 v59, 1, v3
	v_lshlrev_b32_e32 v60, 30, v3
	v_lshlrev_b32_e32 v61, 29, v3
	;; [unrolled: 1-line block ×4, first 2 shown]
	v_add_co_u32 v59, s24, v59, -1
	s_delay_alu instid0(VALU_DEP_1)
	v_cndmask_b32_e64 v63, 0, 1, s24
	v_not_b32_e32 v67, v60
	v_cmp_gt_i32_e64 s25, 0, v60
	v_not_b32_e32 v60, v61
	v_lshlrev_b32_e32 v65, 26, v3
	v_cmp_ne_u32_e64 s24, 0, v63
	v_ashrrev_i32_e32 v67, 31, v67
	v_lshlrev_b32_e32 v66, 25, v3
	v_ashrrev_i32_e32 v60, 31, v60
	v_lshlrev_b32_e32 v63, 24, v3
	v_xor_b32_e32 v59, s24, v59
	v_cmp_gt_i32_e64 s24, 0, v61
	v_not_b32_e32 v61, v62
	v_xor_b32_e32 v67, s25, v67
	v_cmp_gt_i32_e64 s25, 0, v62
	v_and_b32_e32 v59, exec_lo, v59
	v_not_b32_e32 v62, v64
	v_ashrrev_i32_e32 v61, 31, v61
	v_xor_b32_e32 v60, s24, v60
	v_cmp_gt_i32_e64 s24, 0, v64
	v_and_b32_e32 v59, v59, v67
	v_not_b32_e32 v64, v65
	v_ashrrev_i32_e32 v62, 31, v62
	v_xor_b32_e32 v61, s25, v61
	v_cmp_gt_i32_e64 s25, 0, v65
	v_and_b32_e32 v59, v59, v60
	v_not_b32_e32 v60, v66
	v_ashrrev_i32_e32 v64, 31, v64
	v_xor_b32_e32 v62, s24, v62
	v_cmp_gt_i32_e64 s24, 0, v66
	v_and_b32_e32 v59, v59, v61
	v_not_b32_e32 v61, v63
	v_ashrrev_i32_e32 v60, 31, v60
	v_xor_b32_e32 v64, s25, v64
	v_lshl_add_u32 v3, v3, 4, v3
	v_and_b32_e32 v59, v59, v62
	v_cmp_gt_i32_e64 s25, 0, v63
	v_ashrrev_i32_e32 v62, 31, v61
	v_xor_b32_e32 v60, s24, v60
	v_add_lshl_u32 v61, v2, v3, 2
	v_and_b32_e32 v59, v59, v64
	s_delay_alu instid0(VALU_DEP_4) | instskip(NEXT) | instid1(VALU_DEP_2)
	v_xor_b32_e32 v3, s25, v62
	v_and_b32_e32 v60, v59, v60
	ds_load_b32 v59, v61 offset:64
	; wave barrier
	v_and_b32_e32 v3, v60, v3
	s_delay_alu instid0(VALU_DEP_1) | instskip(SKIP_1) | instid1(VALU_DEP_2)
	v_mbcnt_lo_u32_b32 v60, v3, 0
	v_cmp_ne_u32_e64 s25, 0, v3
	v_cmp_eq_u32_e64 s24, 0, v60
	s_delay_alu instid0(VALU_DEP_1) | instskip(NEXT) | instid1(SALU_CYCLE_1)
	s_and_b32 s25, s25, s24
	s_and_saveexec_b32 s24, s25
	s_cbranch_execz .LBB24_67
; %bb.66:
	s_waitcnt lgkmcnt(0)
	v_bcnt_u32_b32 v3, v3, v59
	ds_store_b32 v61, v3 offset:64
.LBB24_67:
	s_or_b32 exec_lo, exec_lo, s24
	v_xor_b32_e32 v58, 0x80000000, v58
	; wave barrier
	s_delay_alu instid0(VALU_DEP_1) | instskip(NEXT) | instid1(VALU_DEP_1)
	v_lshrrev_b32_e32 v3, s64, v58
	v_and_b32_e32 v3, s51, v3
	s_delay_alu instid0(VALU_DEP_1)
	v_and_b32_e32 v62, 1, v3
	v_lshlrev_b32_e32 v63, 30, v3
	v_lshlrev_b32_e32 v64, 29, v3
	;; [unrolled: 1-line block ×4, first 2 shown]
	v_add_co_u32 v62, s24, v62, -1
	s_delay_alu instid0(VALU_DEP_1)
	v_cndmask_b32_e64 v66, 0, 1, s24
	v_not_b32_e32 v70, v63
	v_cmp_gt_i32_e64 s25, 0, v63
	v_not_b32_e32 v63, v64
	v_lshlrev_b32_e32 v68, 26, v3
	v_cmp_ne_u32_e64 s24, 0, v66
	v_ashrrev_i32_e32 v70, 31, v70
	v_lshlrev_b32_e32 v69, 25, v3
	v_ashrrev_i32_e32 v63, 31, v63
	v_lshlrev_b32_e32 v66, 24, v3
	v_xor_b32_e32 v62, s24, v62
	v_cmp_gt_i32_e64 s24, 0, v64
	v_not_b32_e32 v64, v65
	v_xor_b32_e32 v70, s25, v70
	v_cmp_gt_i32_e64 s25, 0, v65
	v_and_b32_e32 v62, exec_lo, v62
	v_not_b32_e32 v65, v67
	v_ashrrev_i32_e32 v64, 31, v64
	v_xor_b32_e32 v63, s24, v63
	v_cmp_gt_i32_e64 s24, 0, v67
	v_and_b32_e32 v62, v62, v70
	v_not_b32_e32 v67, v68
	v_ashrrev_i32_e32 v65, 31, v65
	v_xor_b32_e32 v64, s25, v64
	v_cmp_gt_i32_e64 s25, 0, v68
	v_and_b32_e32 v62, v62, v63
	v_not_b32_e32 v63, v69
	v_ashrrev_i32_e32 v67, 31, v67
	v_xor_b32_e32 v65, s24, v65
	v_cmp_gt_i32_e64 s24, 0, v69
	v_and_b32_e32 v62, v62, v64
	v_not_b32_e32 v64, v66
	v_ashrrev_i32_e32 v63, 31, v63
	v_xor_b32_e32 v67, s25, v67
	v_lshl_add_u32 v3, v3, 4, v3
	v_and_b32_e32 v62, v62, v65
	v_cmp_gt_i32_e64 s25, 0, v66
	v_ashrrev_i32_e32 v65, 31, v64
	v_xor_b32_e32 v63, s24, v63
	v_add_lshl_u32 v64, v2, v3, 2
	v_and_b32_e32 v62, v62, v67
	s_delay_alu instid0(VALU_DEP_4) | instskip(NEXT) | instid1(VALU_DEP_2)
	v_xor_b32_e32 v3, s25, v65
	v_and_b32_e32 v63, v62, v63
	ds_load_b32 v62, v64 offset:64
	; wave barrier
	v_and_b32_e32 v3, v63, v3
	s_delay_alu instid0(VALU_DEP_1) | instskip(SKIP_1) | instid1(VALU_DEP_2)
	v_mbcnt_lo_u32_b32 v63, v3, 0
	v_cmp_ne_u32_e64 s25, 0, v3
	v_cmp_eq_u32_e64 s24, 0, v63
	s_delay_alu instid0(VALU_DEP_1) | instskip(NEXT) | instid1(SALU_CYCLE_1)
	s_and_b32 s25, s25, s24
	s_and_saveexec_b32 s24, s25
	s_cbranch_execz .LBB24_69
; %bb.68:
	s_waitcnt lgkmcnt(0)
	v_bcnt_u32_b32 v3, v3, v62
	ds_store_b32 v64, v3 offset:64
.LBB24_69:
	s_or_b32 exec_lo, exec_lo, s24
	v_xor_b32_e32 v56, 0x80000000, v56
	; wave barrier
	s_delay_alu instid0(VALU_DEP_1) | instskip(NEXT) | instid1(VALU_DEP_1)
	v_lshrrev_b32_e32 v3, s64, v56
	v_and_b32_e32 v3, s51, v3
	s_delay_alu instid0(VALU_DEP_1)
	v_and_b32_e32 v65, 1, v3
	v_lshlrev_b32_e32 v66, 30, v3
	v_lshlrev_b32_e32 v67, 29, v3
	;; [unrolled: 1-line block ×4, first 2 shown]
	v_add_co_u32 v65, s24, v65, -1
	s_delay_alu instid0(VALU_DEP_1)
	v_cndmask_b32_e64 v69, 0, 1, s24
	v_not_b32_e32 v73, v66
	v_cmp_gt_i32_e64 s25, 0, v66
	v_not_b32_e32 v66, v67
	v_lshlrev_b32_e32 v71, 26, v3
	v_cmp_ne_u32_e64 s24, 0, v69
	v_ashrrev_i32_e32 v73, 31, v73
	v_lshlrev_b32_e32 v72, 25, v3
	v_ashrrev_i32_e32 v66, 31, v66
	v_lshlrev_b32_e32 v69, 24, v3
	v_xor_b32_e32 v65, s24, v65
	v_cmp_gt_i32_e64 s24, 0, v67
	v_not_b32_e32 v67, v68
	v_xor_b32_e32 v73, s25, v73
	v_cmp_gt_i32_e64 s25, 0, v68
	v_and_b32_e32 v65, exec_lo, v65
	v_not_b32_e32 v68, v70
	v_ashrrev_i32_e32 v67, 31, v67
	v_xor_b32_e32 v66, s24, v66
	v_cmp_gt_i32_e64 s24, 0, v70
	v_and_b32_e32 v65, v65, v73
	v_not_b32_e32 v70, v71
	v_ashrrev_i32_e32 v68, 31, v68
	v_xor_b32_e32 v67, s25, v67
	v_cmp_gt_i32_e64 s25, 0, v71
	v_and_b32_e32 v65, v65, v66
	;; [unrolled: 5-line block ×3, first 2 shown]
	v_not_b32_e32 v67, v69
	v_ashrrev_i32_e32 v66, 31, v66
	v_xor_b32_e32 v70, s25, v70
	v_lshl_add_u32 v3, v3, 4, v3
	v_and_b32_e32 v65, v65, v68
	v_cmp_gt_i32_e64 s25, 0, v69
	v_ashrrev_i32_e32 v68, 31, v67
	v_xor_b32_e32 v66, s24, v66
	v_add_lshl_u32 v67, v2, v3, 2
	v_and_b32_e32 v65, v65, v70
	s_delay_alu instid0(VALU_DEP_4) | instskip(NEXT) | instid1(VALU_DEP_2)
	v_xor_b32_e32 v3, s25, v68
	v_and_b32_e32 v66, v65, v66
	ds_load_b32 v65, v67 offset:64
	; wave barrier
	v_and_b32_e32 v3, v66, v3
	s_delay_alu instid0(VALU_DEP_1) | instskip(SKIP_1) | instid1(VALU_DEP_2)
	v_mbcnt_lo_u32_b32 v66, v3, 0
	v_cmp_ne_u32_e64 s25, 0, v3
	v_cmp_eq_u32_e64 s24, 0, v66
	s_delay_alu instid0(VALU_DEP_1) | instskip(NEXT) | instid1(SALU_CYCLE_1)
	s_and_b32 s25, s25, s24
	s_and_saveexec_b32 s24, s25
	s_cbranch_execz .LBB24_71
; %bb.70:
	s_waitcnt lgkmcnt(0)
	v_bcnt_u32_b32 v3, v3, v65
	ds_store_b32 v67, v3 offset:64
.LBB24_71:
	s_or_b32 exec_lo, exec_lo, s24
	v_xor_b32_e32 v51, 0x80000000, v51
	; wave barrier
	s_delay_alu instid0(VALU_DEP_1) | instskip(NEXT) | instid1(VALU_DEP_1)
	v_lshrrev_b32_e32 v3, s64, v51
	v_and_b32_e32 v3, s51, v3
	s_delay_alu instid0(VALU_DEP_1)
	v_and_b32_e32 v68, 1, v3
	v_lshlrev_b32_e32 v69, 30, v3
	v_lshlrev_b32_e32 v70, 29, v3
	;; [unrolled: 1-line block ×4, first 2 shown]
	v_add_co_u32 v68, s24, v68, -1
	s_delay_alu instid0(VALU_DEP_1)
	v_cndmask_b32_e64 v72, 0, 1, s24
	v_not_b32_e32 v76, v69
	v_cmp_gt_i32_e64 s25, 0, v69
	v_not_b32_e32 v69, v70
	v_lshlrev_b32_e32 v74, 26, v3
	v_cmp_ne_u32_e64 s24, 0, v72
	v_ashrrev_i32_e32 v76, 31, v76
	v_lshlrev_b32_e32 v75, 25, v3
	v_ashrrev_i32_e32 v69, 31, v69
	v_lshlrev_b32_e32 v72, 24, v3
	v_xor_b32_e32 v68, s24, v68
	v_cmp_gt_i32_e64 s24, 0, v70
	v_not_b32_e32 v70, v71
	v_xor_b32_e32 v76, s25, v76
	v_cmp_gt_i32_e64 s25, 0, v71
	v_and_b32_e32 v68, exec_lo, v68
	v_not_b32_e32 v71, v73
	v_ashrrev_i32_e32 v70, 31, v70
	v_xor_b32_e32 v69, s24, v69
	v_cmp_gt_i32_e64 s24, 0, v73
	v_and_b32_e32 v68, v68, v76
	v_not_b32_e32 v73, v74
	v_ashrrev_i32_e32 v71, 31, v71
	v_xor_b32_e32 v70, s25, v70
	v_cmp_gt_i32_e64 s25, 0, v74
	v_and_b32_e32 v68, v68, v69
	;; [unrolled: 5-line block ×3, first 2 shown]
	v_not_b32_e32 v70, v72
	v_ashrrev_i32_e32 v69, 31, v69
	v_xor_b32_e32 v73, s25, v73
	v_lshl_add_u32 v3, v3, 4, v3
	v_and_b32_e32 v68, v68, v71
	v_cmp_gt_i32_e64 s25, 0, v72
	v_ashrrev_i32_e32 v71, 31, v70
	v_xor_b32_e32 v69, s24, v69
	v_add_lshl_u32 v70, v2, v3, 2
	v_and_b32_e32 v68, v68, v73
	s_delay_alu instid0(VALU_DEP_4) | instskip(NEXT) | instid1(VALU_DEP_2)
	v_xor_b32_e32 v3, s25, v71
	v_and_b32_e32 v69, v68, v69
	ds_load_b32 v68, v70 offset:64
	; wave barrier
	v_and_b32_e32 v3, v69, v3
	s_delay_alu instid0(VALU_DEP_1) | instskip(SKIP_1) | instid1(VALU_DEP_2)
	v_mbcnt_lo_u32_b32 v69, v3, 0
	v_cmp_ne_u32_e64 s25, 0, v3
	v_cmp_eq_u32_e64 s24, 0, v69
	s_delay_alu instid0(VALU_DEP_1) | instskip(NEXT) | instid1(SALU_CYCLE_1)
	s_and_b32 s25, s25, s24
	s_and_saveexec_b32 s24, s25
	s_cbranch_execz .LBB24_73
; %bb.72:
	s_waitcnt lgkmcnt(0)
	v_bcnt_u32_b32 v3, v3, v68
	ds_store_b32 v70, v3 offset:64
.LBB24_73:
	s_or_b32 exec_lo, exec_lo, s24
	v_xor_b32_e32 v47, 0x80000000, v47
	; wave barrier
	s_delay_alu instid0(VALU_DEP_1) | instskip(NEXT) | instid1(VALU_DEP_1)
	v_lshrrev_b32_e32 v3, s64, v47
	v_and_b32_e32 v3, s51, v3
	s_delay_alu instid0(VALU_DEP_1)
	v_and_b32_e32 v71, 1, v3
	v_lshlrev_b32_e32 v72, 30, v3
	v_lshlrev_b32_e32 v73, 29, v3
	;; [unrolled: 1-line block ×4, first 2 shown]
	v_add_co_u32 v71, s24, v71, -1
	s_delay_alu instid0(VALU_DEP_1)
	v_cndmask_b32_e64 v75, 0, 1, s24
	v_not_b32_e32 v79, v72
	v_cmp_gt_i32_e64 s25, 0, v72
	v_not_b32_e32 v72, v73
	v_lshlrev_b32_e32 v77, 26, v3
	v_cmp_ne_u32_e64 s24, 0, v75
	v_ashrrev_i32_e32 v79, 31, v79
	v_lshlrev_b32_e32 v78, 25, v3
	v_ashrrev_i32_e32 v72, 31, v72
	v_lshlrev_b32_e32 v75, 24, v3
	v_xor_b32_e32 v71, s24, v71
	v_cmp_gt_i32_e64 s24, 0, v73
	v_not_b32_e32 v73, v74
	v_xor_b32_e32 v79, s25, v79
	v_cmp_gt_i32_e64 s25, 0, v74
	v_and_b32_e32 v71, exec_lo, v71
	v_not_b32_e32 v74, v76
	v_ashrrev_i32_e32 v73, 31, v73
	v_xor_b32_e32 v72, s24, v72
	v_cmp_gt_i32_e64 s24, 0, v76
	v_and_b32_e32 v71, v71, v79
	v_not_b32_e32 v76, v77
	v_ashrrev_i32_e32 v74, 31, v74
	v_xor_b32_e32 v73, s25, v73
	v_cmp_gt_i32_e64 s25, 0, v77
	v_and_b32_e32 v71, v71, v72
	;; [unrolled: 5-line block ×3, first 2 shown]
	v_not_b32_e32 v73, v75
	v_ashrrev_i32_e32 v72, 31, v72
	v_xor_b32_e32 v76, s25, v76
	v_lshl_add_u32 v3, v3, 4, v3
	v_and_b32_e32 v71, v71, v74
	v_cmp_gt_i32_e64 s25, 0, v75
	v_ashrrev_i32_e32 v73, 31, v73
	v_xor_b32_e32 v72, s24, v72
	v_add_lshl_u32 v74, v2, v3, 2
	v_and_b32_e32 v71, v71, v76
	s_delay_alu instid0(VALU_DEP_4) | instskip(NEXT) | instid1(VALU_DEP_2)
	v_xor_b32_e32 v3, s25, v73
	v_and_b32_e32 v71, v71, v72
	ds_load_b32 v72, v74 offset:64
	; wave barrier
	v_and_b32_e32 v3, v71, v3
	s_delay_alu instid0(VALU_DEP_1) | instskip(SKIP_1) | instid1(VALU_DEP_2)
	v_mbcnt_lo_u32_b32 v73, v3, 0
	v_cmp_ne_u32_e64 s25, 0, v3
	v_cmp_eq_u32_e64 s24, 0, v73
	s_delay_alu instid0(VALU_DEP_1) | instskip(NEXT) | instid1(SALU_CYCLE_1)
	s_and_b32 s25, s25, s24
	s_and_saveexec_b32 s24, s25
	s_cbranch_execz .LBB24_75
; %bb.74:
	s_waitcnt lgkmcnt(0)
	v_bcnt_u32_b32 v3, v3, v72
	ds_store_b32 v74, v3 offset:64
.LBB24_75:
	s_or_b32 exec_lo, exec_lo, s24
	v_xor_b32_e32 v71, 0x80000000, v42
	; wave barrier
	s_delay_alu instid0(VALU_DEP_1) | instskip(NEXT) | instid1(VALU_DEP_1)
	v_lshrrev_b32_e32 v3, s64, v71
	v_and_b32_e32 v3, s51, v3
	s_delay_alu instid0(VALU_DEP_1)
	v_and_b32_e32 v42, 1, v3
	v_lshlrev_b32_e32 v75, 30, v3
	v_lshlrev_b32_e32 v76, 29, v3
	;; [unrolled: 1-line block ×4, first 2 shown]
	v_add_co_u32 v42, s24, v42, -1
	s_delay_alu instid0(VALU_DEP_1)
	v_cndmask_b32_e64 v78, 0, 1, s24
	v_not_b32_e32 v82, v75
	v_cmp_gt_i32_e64 s25, 0, v75
	v_not_b32_e32 v75, v76
	v_lshlrev_b32_e32 v80, 26, v3
	v_cmp_ne_u32_e64 s24, 0, v78
	v_ashrrev_i32_e32 v82, 31, v82
	v_lshlrev_b32_e32 v81, 25, v3
	v_ashrrev_i32_e32 v75, 31, v75
	v_lshlrev_b32_e32 v78, 24, v3
	v_xor_b32_e32 v42, s24, v42
	v_cmp_gt_i32_e64 s24, 0, v76
	v_not_b32_e32 v76, v77
	v_xor_b32_e32 v82, s25, v82
	v_cmp_gt_i32_e64 s25, 0, v77
	v_and_b32_e32 v42, exec_lo, v42
	v_not_b32_e32 v77, v79
	v_ashrrev_i32_e32 v76, 31, v76
	v_xor_b32_e32 v75, s24, v75
	v_cmp_gt_i32_e64 s24, 0, v79
	v_and_b32_e32 v42, v42, v82
	v_not_b32_e32 v79, v80
	v_ashrrev_i32_e32 v77, 31, v77
	v_xor_b32_e32 v76, s25, v76
	v_cmp_gt_i32_e64 s25, 0, v80
	v_and_b32_e32 v42, v42, v75
	;; [unrolled: 5-line block ×3, first 2 shown]
	v_not_b32_e32 v76, v78
	v_ashrrev_i32_e32 v75, 31, v75
	v_xor_b32_e32 v79, s25, v79
	v_lshl_add_u32 v3, v3, 4, v3
	v_and_b32_e32 v42, v42, v77
	v_cmp_gt_i32_e64 s25, 0, v78
	v_ashrrev_i32_e32 v76, 31, v76
	v_xor_b32_e32 v75, s24, v75
	v_add_lshl_u32 v77, v2, v3, 2
	v_and_b32_e32 v42, v42, v79
	s_delay_alu instid0(VALU_DEP_4) | instskip(NEXT) | instid1(VALU_DEP_2)
	v_xor_b32_e32 v3, s25, v76
	v_and_b32_e32 v75, v42, v75
	ds_load_b32 v42, v77 offset:64
	; wave barrier
	v_and_b32_e32 v3, v75, v3
	s_delay_alu instid0(VALU_DEP_1) | instskip(SKIP_1) | instid1(VALU_DEP_2)
	v_mbcnt_lo_u32_b32 v76, v3, 0
	v_cmp_ne_u32_e64 s25, 0, v3
	v_cmp_eq_u32_e64 s24, 0, v76
	s_delay_alu instid0(VALU_DEP_1) | instskip(NEXT) | instid1(SALU_CYCLE_1)
	s_and_b32 s25, s25, s24
	s_and_saveexec_b32 s24, s25
	s_cbranch_execz .LBB24_77
; %bb.76:
	s_waitcnt lgkmcnt(0)
	v_bcnt_u32_b32 v3, v3, v42
	ds_store_b32 v77, v3 offset:64
.LBB24_77:
	s_or_b32 exec_lo, exec_lo, s24
	v_xor_b32_e32 v75, 0x80000000, v9
	; wave barrier
	s_delay_alu instid0(VALU_DEP_1) | instskip(NEXT) | instid1(VALU_DEP_1)
	v_lshrrev_b32_e32 v3, s64, v75
	v_and_b32_e32 v3, s51, v3
	s_delay_alu instid0(VALU_DEP_1)
	v_and_b32_e32 v9, 1, v3
	v_lshlrev_b32_e32 v78, 30, v3
	v_lshlrev_b32_e32 v79, 29, v3
	;; [unrolled: 1-line block ×4, first 2 shown]
	v_add_co_u32 v9, s24, v9, -1
	s_delay_alu instid0(VALU_DEP_1)
	v_cndmask_b32_e64 v81, 0, 1, s24
	v_not_b32_e32 v85, v78
	v_cmp_gt_i32_e64 s25, 0, v78
	v_not_b32_e32 v78, v79
	v_lshlrev_b32_e32 v83, 26, v3
	v_cmp_ne_u32_e64 s24, 0, v81
	v_ashrrev_i32_e32 v85, 31, v85
	v_lshlrev_b32_e32 v84, 25, v3
	v_ashrrev_i32_e32 v78, 31, v78
	v_lshlrev_b32_e32 v81, 24, v3
	v_xor_b32_e32 v9, s24, v9
	v_cmp_gt_i32_e64 s24, 0, v79
	v_not_b32_e32 v79, v80
	v_xor_b32_e32 v85, s25, v85
	v_cmp_gt_i32_e64 s25, 0, v80
	v_and_b32_e32 v9, exec_lo, v9
	v_not_b32_e32 v80, v82
	v_ashrrev_i32_e32 v79, 31, v79
	v_xor_b32_e32 v78, s24, v78
	v_cmp_gt_i32_e64 s24, 0, v82
	v_and_b32_e32 v9, v9, v85
	v_not_b32_e32 v82, v83
	v_ashrrev_i32_e32 v80, 31, v80
	v_xor_b32_e32 v79, s25, v79
	v_cmp_gt_i32_e64 s25, 0, v83
	v_and_b32_e32 v9, v9, v78
	;; [unrolled: 5-line block ×3, first 2 shown]
	v_not_b32_e32 v79, v81
	v_ashrrev_i32_e32 v78, 31, v78
	v_xor_b32_e32 v82, s25, v82
	v_lshl_add_u32 v3, v3, 4, v3
	v_and_b32_e32 v9, v9, v80
	v_cmp_gt_i32_e64 s25, 0, v81
	v_ashrrev_i32_e32 v79, 31, v79
	v_xor_b32_e32 v78, s24, v78
	v_add_lshl_u32 v81, v2, v3, 2
	v_and_b32_e32 v9, v9, v82
	s_delay_alu instid0(VALU_DEP_4) | instskip(SKIP_2) | instid1(VALU_DEP_1)
	v_xor_b32_e32 v3, s25, v79
	ds_load_b32 v79, v81 offset:64
	v_and_b32_e32 v9, v9, v78
	; wave barrier
	v_and_b32_e32 v3, v9, v3
	s_delay_alu instid0(VALU_DEP_1) | instskip(SKIP_1) | instid1(VALU_DEP_2)
	v_mbcnt_lo_u32_b32 v80, v3, 0
	v_cmp_ne_u32_e64 s25, 0, v3
	v_cmp_eq_u32_e64 s24, 0, v80
	s_delay_alu instid0(VALU_DEP_1) | instskip(NEXT) | instid1(SALU_CYCLE_1)
	s_and_b32 s25, s25, s24
	s_and_saveexec_b32 s24, s25
	s_cbranch_execz .LBB24_79
; %bb.78:
	s_waitcnt lgkmcnt(0)
	v_bcnt_u32_b32 v3, v3, v79
	ds_store_b32 v81, v3 offset:64
.LBB24_79:
	s_or_b32 exec_lo, exec_lo, s24
	v_xor_b32_e32 v78, 0x80000000, v8
	; wave barrier
	s_delay_alu instid0(VALU_DEP_1) | instskip(NEXT) | instid1(VALU_DEP_1)
	v_lshrrev_b32_e32 v3, s64, v78
	v_and_b32_e32 v3, s51, v3
	s_delay_alu instid0(VALU_DEP_1)
	v_and_b32_e32 v8, 1, v3
	v_lshlrev_b32_e32 v9, 30, v3
	v_lshlrev_b32_e32 v82, 29, v3
	;; [unrolled: 1-line block ×4, first 2 shown]
	v_add_co_u32 v8, s24, v8, -1
	s_delay_alu instid0(VALU_DEP_1)
	v_cndmask_b32_e64 v84, 0, 1, s24
	v_not_b32_e32 v88, v9
	v_cmp_gt_i32_e64 s25, 0, v9
	v_not_b32_e32 v9, v82
	v_lshlrev_b32_e32 v86, 26, v3
	v_cmp_ne_u32_e64 s24, 0, v84
	v_ashrrev_i32_e32 v88, 31, v88
	v_lshlrev_b32_e32 v87, 25, v3
	v_ashrrev_i32_e32 v9, 31, v9
	v_lshlrev_b32_e32 v84, 24, v3
	v_xor_b32_e32 v8, s24, v8
	v_cmp_gt_i32_e64 s24, 0, v82
	v_not_b32_e32 v82, v83
	v_xor_b32_e32 v88, s25, v88
	v_cmp_gt_i32_e64 s25, 0, v83
	v_and_b32_e32 v8, exec_lo, v8
	v_not_b32_e32 v83, v85
	v_ashrrev_i32_e32 v82, 31, v82
	v_xor_b32_e32 v9, s24, v9
	v_cmp_gt_i32_e64 s24, 0, v85
	v_and_b32_e32 v8, v8, v88
	v_not_b32_e32 v85, v86
	v_ashrrev_i32_e32 v83, 31, v83
	v_xor_b32_e32 v82, s25, v82
	v_cmp_gt_i32_e64 s25, 0, v86
	v_and_b32_e32 v8, v8, v9
	;; [unrolled: 5-line block ×3, first 2 shown]
	v_not_b32_e32 v82, v84
	v_ashrrev_i32_e32 v9, 31, v9
	v_xor_b32_e32 v85, s25, v85
	v_lshl_add_u32 v3, v3, 4, v3
	v_and_b32_e32 v8, v8, v83
	v_cmp_gt_i32_e64 s25, 0, v84
	v_ashrrev_i32_e32 v82, 31, v82
	v_xor_b32_e32 v9, s24, v9
	s_delay_alu instid0(VALU_DEP_4) | instskip(SKIP_1) | instid1(VALU_DEP_4)
	v_and_b32_e32 v8, v8, v85
	v_add_lshl_u32 v85, v2, v3, 2
	v_xor_b32_e32 v3, s25, v82
	s_delay_alu instid0(VALU_DEP_3) | instskip(SKIP_2) | instid1(VALU_DEP_1)
	v_and_b32_e32 v8, v8, v9
	ds_load_b32 v83, v85 offset:64
	; wave barrier
	v_and_b32_e32 v3, v8, v3
	v_mbcnt_lo_u32_b32 v84, v3, 0
	v_cmp_ne_u32_e64 s25, 0, v3
	s_delay_alu instid0(VALU_DEP_2) | instskip(NEXT) | instid1(VALU_DEP_1)
	v_cmp_eq_u32_e64 s24, 0, v84
	s_and_b32 s25, s25, s24
	s_delay_alu instid0(SALU_CYCLE_1)
	s_and_saveexec_b32 s24, s25
	s_cbranch_execz .LBB24_81
; %bb.80:
	s_waitcnt lgkmcnt(0)
	v_bcnt_u32_b32 v3, v3, v83
	ds_store_b32 v85, v3 offset:64
.LBB24_81:
	s_or_b32 exec_lo, exec_lo, s24
	v_xor_b32_e32 v82, 0x80000000, v7
	; wave barrier
	s_delay_alu instid0(VALU_DEP_1) | instskip(NEXT) | instid1(VALU_DEP_1)
	v_lshrrev_b32_e32 v3, s64, v82
	v_and_b32_e32 v3, s51, v3
	s_delay_alu instid0(VALU_DEP_1)
	v_and_b32_e32 v7, 1, v3
	v_lshlrev_b32_e32 v8, 30, v3
	v_lshlrev_b32_e32 v9, 29, v3
	v_lshlrev_b32_e32 v86, 28, v3
	v_lshlrev_b32_e32 v88, 27, v3
	v_add_co_u32 v7, s24, v7, -1
	s_delay_alu instid0(VALU_DEP_1)
	v_cndmask_b32_e64 v87, 0, 1, s24
	v_not_b32_e32 v91, v8
	v_cmp_gt_i32_e64 s25, 0, v8
	v_not_b32_e32 v8, v9
	v_lshlrev_b32_e32 v89, 26, v3
	v_cmp_ne_u32_e64 s24, 0, v87
	v_ashrrev_i32_e32 v91, 31, v91
	v_lshlrev_b32_e32 v90, 25, v3
	v_ashrrev_i32_e32 v8, 31, v8
	v_lshlrev_b32_e32 v87, 24, v3
	v_xor_b32_e32 v7, s24, v7
	v_cmp_gt_i32_e64 s24, 0, v9
	v_not_b32_e32 v9, v86
	v_xor_b32_e32 v91, s25, v91
	v_cmp_gt_i32_e64 s25, 0, v86
	v_and_b32_e32 v7, exec_lo, v7
	v_not_b32_e32 v86, v88
	v_ashrrev_i32_e32 v9, 31, v9
	v_xor_b32_e32 v8, s24, v8
	v_cmp_gt_i32_e64 s24, 0, v88
	v_and_b32_e32 v7, v7, v91
	v_not_b32_e32 v88, v89
	v_ashrrev_i32_e32 v86, 31, v86
	v_xor_b32_e32 v9, s25, v9
	v_cmp_gt_i32_e64 s25, 0, v89
	v_and_b32_e32 v7, v7, v8
	;; [unrolled: 5-line block ×3, first 2 shown]
	v_not_b32_e32 v9, v87
	v_ashrrev_i32_e32 v8, 31, v8
	v_xor_b32_e32 v88, s25, v88
	v_lshl_add_u32 v3, v3, 4, v3
	v_and_b32_e32 v7, v7, v86
	v_cmp_gt_i32_e64 s25, 0, v87
	v_ashrrev_i32_e32 v9, 31, v9
	v_xor_b32_e32 v8, s24, v8
	v_add_lshl_u32 v89, v2, v3, 2
	v_and_b32_e32 v7, v7, v88
	s_delay_alu instid0(VALU_DEP_4) | instskip(SKIP_2) | instid1(VALU_DEP_1)
	v_xor_b32_e32 v3, s25, v9
	ds_load_b32 v87, v89 offset:64
	v_and_b32_e32 v7, v7, v8
	; wave barrier
	v_and_b32_e32 v3, v7, v3
	s_delay_alu instid0(VALU_DEP_1) | instskip(SKIP_1) | instid1(VALU_DEP_2)
	v_mbcnt_lo_u32_b32 v88, v3, 0
	v_cmp_ne_u32_e64 s25, 0, v3
	v_cmp_eq_u32_e64 s24, 0, v88
	s_delay_alu instid0(VALU_DEP_1) | instskip(NEXT) | instid1(SALU_CYCLE_1)
	s_and_b32 s25, s25, s24
	s_and_saveexec_b32 s24, s25
	s_cbranch_execz .LBB24_83
; %bb.82:
	s_waitcnt lgkmcnt(0)
	v_bcnt_u32_b32 v3, v3, v87
	ds_store_b32 v89, v3 offset:64
.LBB24_83:
	s_or_b32 exec_lo, exec_lo, s24
	v_xor_b32_e32 v86, 0x80000000, v6
	; wave barrier
	s_delay_alu instid0(VALU_DEP_1) | instskip(NEXT) | instid1(VALU_DEP_1)
	v_lshrrev_b32_e32 v3, s64, v86
	v_and_b32_e32 v3, s51, v3
	s_delay_alu instid0(VALU_DEP_1)
	v_and_b32_e32 v6, 1, v3
	v_lshlrev_b32_e32 v7, 30, v3
	v_lshlrev_b32_e32 v8, 29, v3
	;; [unrolled: 1-line block ×4, first 2 shown]
	v_add_co_u32 v6, s24, v6, -1
	s_delay_alu instid0(VALU_DEP_1)
	v_cndmask_b32_e64 v90, 0, 1, s24
	v_not_b32_e32 v94, v7
	v_cmp_gt_i32_e64 s25, 0, v7
	v_not_b32_e32 v7, v8
	v_lshlrev_b32_e32 v92, 26, v3
	v_cmp_ne_u32_e64 s24, 0, v90
	v_ashrrev_i32_e32 v94, 31, v94
	v_lshlrev_b32_e32 v93, 25, v3
	v_ashrrev_i32_e32 v7, 31, v7
	v_lshlrev_b32_e32 v90, 24, v3
	v_xor_b32_e32 v6, s24, v6
	v_cmp_gt_i32_e64 s24, 0, v8
	v_not_b32_e32 v8, v9
	v_xor_b32_e32 v94, s25, v94
	v_cmp_gt_i32_e64 s25, 0, v9
	v_and_b32_e32 v6, exec_lo, v6
	v_not_b32_e32 v9, v91
	v_ashrrev_i32_e32 v8, 31, v8
	v_xor_b32_e32 v7, s24, v7
	v_cmp_gt_i32_e64 s24, 0, v91
	v_and_b32_e32 v6, v6, v94
	v_not_b32_e32 v91, v92
	v_ashrrev_i32_e32 v9, 31, v9
	v_xor_b32_e32 v8, s25, v8
	v_cmp_gt_i32_e64 s25, 0, v92
	v_and_b32_e32 v6, v6, v7
	;; [unrolled: 5-line block ×3, first 2 shown]
	v_not_b32_e32 v8, v90
	v_ashrrev_i32_e32 v7, 31, v7
	v_xor_b32_e32 v91, s25, v91
	v_lshl_add_u32 v3, v3, 4, v3
	v_and_b32_e32 v6, v6, v9
	v_cmp_gt_i32_e64 s25, 0, v90
	v_ashrrev_i32_e32 v8, 31, v8
	v_xor_b32_e32 v7, s24, v7
	v_add_lshl_u32 v93, v2, v3, 2
	v_and_b32_e32 v6, v6, v91
	s_delay_alu instid0(VALU_DEP_4) | instskip(SKIP_2) | instid1(VALU_DEP_1)
	v_xor_b32_e32 v3, s25, v8
	ds_load_b32 v91, v93 offset:64
	v_and_b32_e32 v6, v6, v7
	; wave barrier
	v_and_b32_e32 v3, v6, v3
	s_delay_alu instid0(VALU_DEP_1) | instskip(SKIP_1) | instid1(VALU_DEP_2)
	v_mbcnt_lo_u32_b32 v92, v3, 0
	v_cmp_ne_u32_e64 s25, 0, v3
	v_cmp_eq_u32_e64 s24, 0, v92
	s_delay_alu instid0(VALU_DEP_1) | instskip(NEXT) | instid1(SALU_CYCLE_1)
	s_and_b32 s25, s25, s24
	s_and_saveexec_b32 s24, s25
	s_cbranch_execz .LBB24_85
; %bb.84:
	s_waitcnt lgkmcnt(0)
	v_bcnt_u32_b32 v3, v3, v91
	ds_store_b32 v93, v3 offset:64
.LBB24_85:
	s_or_b32 exec_lo, exec_lo, s24
	v_xor_b32_e32 v90, 0x80000000, v5
	; wave barrier
	s_delay_alu instid0(VALU_DEP_1) | instskip(NEXT) | instid1(VALU_DEP_1)
	v_lshrrev_b32_e32 v3, s64, v90
	v_and_b32_e32 v3, s51, v3
	s_delay_alu instid0(VALU_DEP_1)
	v_and_b32_e32 v5, 1, v3
	v_lshlrev_b32_e32 v6, 30, v3
	v_lshlrev_b32_e32 v7, 29, v3
	;; [unrolled: 1-line block ×4, first 2 shown]
	v_add_co_u32 v5, s24, v5, -1
	s_delay_alu instid0(VALU_DEP_1)
	v_cndmask_b32_e64 v9, 0, 1, s24
	v_not_b32_e32 v97, v6
	v_cmp_gt_i32_e64 s25, 0, v6
	v_not_b32_e32 v6, v7
	v_lshlrev_b32_e32 v95, 26, v3
	v_cmp_ne_u32_e64 s24, 0, v9
	v_ashrrev_i32_e32 v97, 31, v97
	v_lshlrev_b32_e32 v96, 25, v3
	v_ashrrev_i32_e32 v6, 31, v6
	v_lshlrev_b32_e32 v9, 24, v3
	v_xor_b32_e32 v5, s24, v5
	v_cmp_gt_i32_e64 s24, 0, v7
	v_not_b32_e32 v7, v8
	v_xor_b32_e32 v97, s25, v97
	v_cmp_gt_i32_e64 s25, 0, v8
	v_and_b32_e32 v5, exec_lo, v5
	v_not_b32_e32 v8, v94
	v_ashrrev_i32_e32 v7, 31, v7
	v_xor_b32_e32 v6, s24, v6
	v_cmp_gt_i32_e64 s24, 0, v94
	v_and_b32_e32 v5, v5, v97
	v_not_b32_e32 v94, v95
	v_ashrrev_i32_e32 v8, 31, v8
	v_xor_b32_e32 v7, s25, v7
	v_cmp_gt_i32_e64 s25, 0, v95
	v_and_b32_e32 v5, v5, v6
	;; [unrolled: 5-line block ×3, first 2 shown]
	v_not_b32_e32 v7, v9
	v_ashrrev_i32_e32 v6, 31, v6
	v_xor_b32_e32 v94, s25, v94
	v_lshl_add_u32 v3, v3, 4, v3
	v_and_b32_e32 v5, v5, v8
	v_cmp_gt_i32_e64 s25, 0, v9
	v_ashrrev_i32_e32 v7, 31, v7
	v_xor_b32_e32 v6, s24, v6
	v_add_lshl_u32 v97, v2, v3, 2
	v_and_b32_e32 v5, v5, v94
	s_delay_alu instid0(VALU_DEP_4) | instskip(SKIP_2) | instid1(VALU_DEP_1)
	v_xor_b32_e32 v3, s25, v7
	ds_load_b32 v95, v97 offset:64
	v_and_b32_e32 v5, v5, v6
	; wave barrier
	v_and_b32_e32 v3, v5, v3
	s_delay_alu instid0(VALU_DEP_1) | instskip(SKIP_1) | instid1(VALU_DEP_2)
	v_mbcnt_lo_u32_b32 v96, v3, 0
	v_cmp_ne_u32_e64 s25, 0, v3
	v_cmp_eq_u32_e64 s24, 0, v96
	s_delay_alu instid0(VALU_DEP_1) | instskip(NEXT) | instid1(SALU_CYCLE_1)
	s_and_b32 s25, s25, s24
	s_and_saveexec_b32 s24, s25
	s_cbranch_execz .LBB24_87
; %bb.86:
	s_waitcnt lgkmcnt(0)
	v_bcnt_u32_b32 v3, v3, v95
	ds_store_b32 v97, v3 offset:64
.LBB24_87:
	s_or_b32 exec_lo, exec_lo, s24
	v_xor_b32_e32 v94, 0x80000000, v4
	; wave barrier
	v_add_nc_u32_e32 v101, 64, v16
	s_delay_alu instid0(VALU_DEP_2) | instskip(NEXT) | instid1(VALU_DEP_1)
	v_lshrrev_b32_e32 v3, s64, v94
	v_and_b32_e32 v3, s51, v3
	s_delay_alu instid0(VALU_DEP_1)
	v_and_b32_e32 v4, 1, v3
	v_lshlrev_b32_e32 v5, 30, v3
	v_lshlrev_b32_e32 v6, 29, v3
	;; [unrolled: 1-line block ×4, first 2 shown]
	v_add_co_u32 v4, s24, v4, -1
	s_delay_alu instid0(VALU_DEP_1)
	v_cndmask_b32_e64 v8, 0, 1, s24
	v_not_b32_e32 v100, v5
	v_cmp_gt_i32_e64 s25, 0, v5
	v_not_b32_e32 v5, v6
	v_lshlrev_b32_e32 v98, 26, v3
	v_cmp_ne_u32_e64 s24, 0, v8
	v_ashrrev_i32_e32 v100, 31, v100
	v_lshlrev_b32_e32 v99, 25, v3
	v_ashrrev_i32_e32 v5, 31, v5
	v_lshlrev_b32_e32 v8, 24, v3
	v_xor_b32_e32 v4, s24, v4
	v_cmp_gt_i32_e64 s24, 0, v6
	v_not_b32_e32 v6, v7
	v_xor_b32_e32 v100, s25, v100
	v_cmp_gt_i32_e64 s25, 0, v7
	v_and_b32_e32 v4, exec_lo, v4
	v_not_b32_e32 v7, v9
	v_ashrrev_i32_e32 v6, 31, v6
	v_xor_b32_e32 v5, s24, v5
	v_cmp_gt_i32_e64 s24, 0, v9
	v_and_b32_e32 v4, v4, v100
	v_not_b32_e32 v9, v98
	v_ashrrev_i32_e32 v7, 31, v7
	v_xor_b32_e32 v6, s25, v6
	v_cmp_gt_i32_e64 s25, 0, v98
	v_and_b32_e32 v4, v4, v5
	;; [unrolled: 5-line block ×3, first 2 shown]
	v_not_b32_e32 v6, v8
	v_ashrrev_i32_e32 v5, 31, v5
	v_xor_b32_e32 v9, s25, v9
	v_lshl_add_u32 v3, v3, 4, v3
	v_and_b32_e32 v4, v4, v7
	v_cmp_gt_i32_e64 s25, 0, v8
	v_ashrrev_i32_e32 v6, 31, v6
	v_xor_b32_e32 v5, s24, v5
	v_add_lshl_u32 v100, v2, v3, 2
	v_and_b32_e32 v4, v4, v9
	s_delay_alu instid0(VALU_DEP_4) | instskip(SKIP_2) | instid1(VALU_DEP_1)
	v_xor_b32_e32 v2, s25, v6
	ds_load_b32 v98, v100 offset:64
	v_and_b32_e32 v3, v4, v5
	; wave barrier
	v_and_b32_e32 v2, v3, v2
	s_delay_alu instid0(VALU_DEP_1) | instskip(SKIP_1) | instid1(VALU_DEP_2)
	v_mbcnt_lo_u32_b32 v99, v2, 0
	v_cmp_ne_u32_e64 s25, 0, v2
	v_cmp_eq_u32_e64 s24, 0, v99
	s_delay_alu instid0(VALU_DEP_1) | instskip(NEXT) | instid1(SALU_CYCLE_1)
	s_and_b32 s25, s25, s24
	s_and_saveexec_b32 s24, s25
	s_cbranch_execz .LBB24_89
; %bb.88:
	s_waitcnt lgkmcnt(0)
	v_bcnt_u32_b32 v2, v2, v98
	ds_store_b32 v100, v2 offset:64
.LBB24_89:
	s_or_b32 exec_lo, exec_lo, s24
	; wave barrier
	s_waitcnt lgkmcnt(0)
	s_barrier
	buffer_gl0_inv
	ds_load_2addr_b32 v[8:9], v16 offset0:16 offset1:17
	ds_load_2addr_b32 v[6:7], v101 offset0:2 offset1:3
	;; [unrolled: 1-line block ×4, first 2 shown]
	ds_load_b32 v102, v101 offset:32
	v_min_u32_e32 v12, 0x1e0, v12
	s_mov_b32 s29, exec_lo
	s_delay_alu instid0(VALU_DEP_1) | instskip(SKIP_3) | instid1(VALU_DEP_1)
	v_or_b32_e32 v12, 31, v12
	s_waitcnt lgkmcnt(3)
	v_add3_u32 v103, v9, v8, v6
	s_waitcnt lgkmcnt(2)
	v_add3_u32 v103, v103, v7, v4
	s_waitcnt lgkmcnt(1)
	s_delay_alu instid0(VALU_DEP_1) | instskip(SKIP_1) | instid1(VALU_DEP_1)
	v_add3_u32 v103, v103, v5, v2
	s_waitcnt lgkmcnt(0)
	v_add3_u32 v102, v103, v3, v102
	v_and_b32_e32 v103, 15, v11
	s_delay_alu instid0(VALU_DEP_2) | instskip(NEXT) | instid1(VALU_DEP_2)
	v_mov_b32_dpp v104, v102 row_shr:1 row_mask:0xf bank_mask:0xf
	v_cmp_eq_u32_e64 s24, 0, v103
	v_cmp_lt_u32_e64 s25, 1, v103
	v_cmp_lt_u32_e64 s26, 3, v103
	;; [unrolled: 1-line block ×3, first 2 shown]
	s_delay_alu instid0(VALU_DEP_4) | instskip(NEXT) | instid1(VALU_DEP_1)
	v_cndmask_b32_e64 v104, v104, 0, s24
	v_add_nc_u32_e32 v102, v104, v102
	s_delay_alu instid0(VALU_DEP_1) | instskip(NEXT) | instid1(VALU_DEP_1)
	v_mov_b32_dpp v104, v102 row_shr:2 row_mask:0xf bank_mask:0xf
	v_cndmask_b32_e64 v104, 0, v104, s25
	s_delay_alu instid0(VALU_DEP_1) | instskip(NEXT) | instid1(VALU_DEP_1)
	v_add_nc_u32_e32 v102, v102, v104
	v_mov_b32_dpp v104, v102 row_shr:4 row_mask:0xf bank_mask:0xf
	s_delay_alu instid0(VALU_DEP_1) | instskip(NEXT) | instid1(VALU_DEP_1)
	v_cndmask_b32_e64 v104, 0, v104, s26
	v_add_nc_u32_e32 v102, v102, v104
	s_delay_alu instid0(VALU_DEP_1) | instskip(NEXT) | instid1(VALU_DEP_1)
	v_mov_b32_dpp v104, v102 row_shr:8 row_mask:0xf bank_mask:0xf
	v_cndmask_b32_e64 v103, 0, v104, s27
	v_bfe_i32 v104, v11, 4, 1
	s_delay_alu instid0(VALU_DEP_2) | instskip(SKIP_4) | instid1(VALU_DEP_2)
	v_add_nc_u32_e32 v102, v102, v103
	ds_swizzle_b32 v103, v102 offset:swizzle(BROADCAST,32,15)
	s_waitcnt lgkmcnt(0)
	v_and_b32_e32 v104, v104, v103
	v_lshrrev_b32_e32 v103, 5, v1
	v_add_nc_u32_e32 v102, v102, v104
	v_cmpx_eq_u32_e64 v12, v1
	s_cbranch_execz .LBB24_91
; %bb.90:
	s_delay_alu instid0(VALU_DEP_3)
	v_lshlrev_b32_e32 v12, 2, v103
	ds_store_b32 v12, v102
.LBB24_91:
	s_or_b32 exec_lo, exec_lo, s29
	v_lshlrev_b32_e32 v12, 2, v1
	s_mov_b32 s29, exec_lo
	s_waitcnt lgkmcnt(0)
	s_barrier
	buffer_gl0_inv
	v_cmpx_gt_u32_e32 16, v1
	s_cbranch_execz .LBB24_93
; %bb.92:
	ds_load_b32 v104, v12
	s_waitcnt lgkmcnt(0)
	v_mov_b32_dpp v105, v104 row_shr:1 row_mask:0xf bank_mask:0xf
	s_delay_alu instid0(VALU_DEP_1) | instskip(NEXT) | instid1(VALU_DEP_1)
	v_cndmask_b32_e64 v105, v105, 0, s24
	v_add_nc_u32_e32 v104, v105, v104
	s_delay_alu instid0(VALU_DEP_1) | instskip(NEXT) | instid1(VALU_DEP_1)
	v_mov_b32_dpp v105, v104 row_shr:2 row_mask:0xf bank_mask:0xf
	v_cndmask_b32_e64 v105, 0, v105, s25
	s_delay_alu instid0(VALU_DEP_1) | instskip(NEXT) | instid1(VALU_DEP_1)
	v_add_nc_u32_e32 v104, v104, v105
	v_mov_b32_dpp v105, v104 row_shr:4 row_mask:0xf bank_mask:0xf
	s_delay_alu instid0(VALU_DEP_1) | instskip(NEXT) | instid1(VALU_DEP_1)
	v_cndmask_b32_e64 v105, 0, v105, s26
	v_add_nc_u32_e32 v104, v104, v105
	s_delay_alu instid0(VALU_DEP_1) | instskip(NEXT) | instid1(VALU_DEP_1)
	v_mov_b32_dpp v105, v104 row_shr:8 row_mask:0xf bank_mask:0xf
	v_cndmask_b32_e64 v105, 0, v105, s27
	s_delay_alu instid0(VALU_DEP_1)
	v_add_nc_u32_e32 v104, v104, v105
	ds_store_b32 v12, v104
.LBB24_93:
	s_or_b32 exec_lo, exec_lo, s29
	v_mov_b32_e32 v104, 0
	s_mov_b32 s25, exec_lo
	s_waitcnt lgkmcnt(0)
	s_barrier
	buffer_gl0_inv
	v_cmpx_lt_u32_e32 31, v1
	s_cbranch_execz .LBB24_95
; %bb.94:
	v_lshl_add_u32 v103, v103, 2, -4
	ds_load_b32 v104, v103
.LBB24_95:
	s_or_b32 exec_lo, exec_lo, s25
	v_add_nc_u32_e32 v103, -1, v11
	s_waitcnt lgkmcnt(0)
	v_add_nc_u32_e32 v102, v104, v102
	s_delay_alu instid0(VALU_DEP_2) | instskip(NEXT) | instid1(VALU_DEP_1)
	v_cmp_gt_i32_e64 s24, 0, v103
	v_cndmask_b32_e64 v103, v103, v11, s24
	v_cmp_eq_u32_e64 s24, 0, v11
	s_delay_alu instid0(VALU_DEP_2) | instskip(SKIP_4) | instid1(VALU_DEP_1)
	v_lshlrev_b32_e32 v103, 2, v103
	ds_bpermute_b32 v102, v103, v102
	s_waitcnt lgkmcnt(0)
	v_cndmask_b32_e64 v102, v102, v104, s24
	v_cmp_ne_u32_e64 s24, 0, v1
	v_cndmask_b32_e64 v102, 0, v102, s24
	v_cmp_gt_u32_e64 s24, 0x100, v1
	s_delay_alu instid0(VALU_DEP_2) | instskip(NEXT) | instid1(VALU_DEP_1)
	v_add_nc_u32_e32 v8, v102, v8
	v_add_nc_u32_e32 v9, v8, v9
	s_delay_alu instid0(VALU_DEP_1) | instskip(NEXT) | instid1(VALU_DEP_1)
	v_add_nc_u32_e32 v6, v9, v6
	v_add_nc_u32_e32 v7, v6, v7
	s_delay_alu instid0(VALU_DEP_1) | instskip(NEXT) | instid1(VALU_DEP_1)
	;; [unrolled: 3-line block ×3, first 2 shown]
	v_add_nc_u32_e32 v2, v5, v2
	v_add_nc_u32_e32 v3, v2, v3
	ds_store_2addr_b32 v16, v102, v8 offset0:16 offset1:17
	ds_store_2addr_b32 v101, v9, v6 offset0:2 offset1:3
	;; [unrolled: 1-line block ×4, first 2 shown]
	ds_store_b32 v101, v3 offset:32
	s_waitcnt lgkmcnt(0)
	s_barrier
	buffer_gl0_inv
	ds_load_b32 v2, v17 offset:64
	ds_load_b32 v3, v21 offset:64
	;; [unrolled: 1-line block ×22, first 2 shown]
                                        ; implicit-def: $vgpr8
                                        ; implicit-def: $vgpr9
	s_and_saveexec_b32 s26, s24
	s_cbranch_execz .LBB24_99
; %bb.96:
	v_mul_u32_u24_e32 v8, 17, v1
	s_mov_b32 s27, exec_lo
	s_delay_alu instid0(VALU_DEP_1)
	v_dual_mov_b32 v9, 0x2c00 :: v_dual_lshlrev_b32 v16, 2, v8
	ds_load_b32 v8, v16 offset:64
	v_cmpx_ne_u32_e32 0xff, v1
	s_cbranch_execz .LBB24_98
; %bb.97:
	ds_load_b32 v9, v16 offset:132
.LBB24_98:
	s_or_b32 exec_lo, exec_lo, s27
	s_waitcnt lgkmcnt(0)
	v_sub_nc_u32_e32 v9, v9, v8
.LBB24_99:
	s_or_b32 exec_lo, exec_lo, s26
	s_waitcnt lgkmcnt(21)
	v_add_nc_u32_e32 v15, v2, v15
	s_waitcnt lgkmcnt(20)
	v_add3_u32 v16, v20, v19, v3
	s_waitcnt lgkmcnt(19)
	v_add3_u32 v17, v24, v23, v4
	;; [unrolled: 2-line block ×4, first 2 shown]
	v_lshlrev_b32_e32 v2, 2, v15
	v_lshlrev_b32_e32 v3, 2, v16
	s_waitcnt lgkmcnt(16)
	v_add3_u32 v21, v36, v35, v7
	s_waitcnt lgkmcnt(15)
	v_add3_u32 v23, v40, v39, v25
	s_waitcnt lgkmcnt(14)
	v_add3_u32 v24, v45, v44, v29
	s_waitcnt lgkmcnt(0)
	s_barrier
	buffer_gl0_inv
	ds_store_b32 v2, v13 offset:2048
	ds_store_b32 v3, v14 offset:2048
	v_lshlrev_b32_e32 v2, 2, v17
	v_add3_u32 v25, v50, v49, v33
	v_lshlrev_b32_e32 v3, 2, v19
	v_add3_u32 v27, v55, v54, v37
	;; [unrolled: 2-line block ×5, first 2 shown]
	ds_store_b32 v2, v18 offset:2048
	ds_store_b32 v3, v22 offset:2048
	;; [unrolled: 1-line block ×5, first 2 shown]
	v_lshlrev_b32_e32 v2, 2, v24
	v_add3_u32 v32, v69, v68, v57
	v_lshlrev_b32_e32 v3, 2, v25
	v_add3_u32 v33, v73, v72, v61
	;; [unrolled: 2-line block ×5, first 2 shown]
	ds_store_b32 v2, v38 offset:2048
	ds_store_b32 v3, v43 offset:2048
	ds_store_b32 v4, v48 offset:2048
	ds_store_b32 v5, v53 offset:2048
	ds_store_b32 v6, v58 offset:2048
	v_lshlrev_b32_e32 v2, 2, v31
	v_add3_u32 v39, v88, v87, v74
	v_lshlrev_b32_e32 v3, 2, v32
	v_add3_u32 v40, v92, v91, v77
	;; [unrolled: 2-line block ×4, first 2 shown]
	v_lshlrev_b32_e32 v6, 2, v36
	ds_store_b32 v2, v56 offset:2048
	ds_store_b32 v3, v51 offset:2048
	;; [unrolled: 1-line block ×5, first 2 shown]
	v_lshlrev_b32_e32 v2, 2, v37
	v_lshlrev_b32_e32 v3, 2, v39
	;; [unrolled: 1-line block ×5, first 2 shown]
	ds_store_b32 v2, v78 offset:2048
	ds_store_b32 v3, v82 offset:2048
	;; [unrolled: 1-line block ×5, first 2 shown]
	s_waitcnt lgkmcnt(0)
	s_barrier
	buffer_gl0_inv
	s_and_saveexec_b32 s26, s24
	s_cbranch_execz .LBB24_109
; %bb.100:
	v_lshl_or_b32 v4, s15, 8, v1
	v_mov_b32_e32 v5, 0
	v_mov_b32_e32 v13, 0
	s_mov_b32 s27, 0
	s_mov_b32 s28, s15
	s_delay_alu instid0(VALU_DEP_2) | instskip(SKIP_1) | instid1(VALU_DEP_2)
	v_lshlrev_b64 v[2:3], 2, v[4:5]
	v_or_b32_e32 v4, 2.0, v9
	v_add_co_u32 v2, s25, s68, v2
	s_delay_alu instid0(VALU_DEP_1)
	v_add_co_ci_u32_e64 v3, s25, s69, v3, s25
                                        ; implicit-def: $sgpr25
	global_store_b32 v[2:3], v4, off
	s_branch .LBB24_102
	.p2align	6
.LBB24_101:                             ;   in Loop: Header=BB24_102 Depth=1
	s_or_b32 exec_lo, exec_lo, s29
	v_and_b32_e32 v6, 0x3fffffff, v14
	v_cmp_eq_u32_e64 s25, 0x80000000, v4
	s_delay_alu instid0(VALU_DEP_2) | instskip(NEXT) | instid1(VALU_DEP_2)
	v_add_nc_u32_e32 v13, v6, v13
	s_and_b32 s29, exec_lo, s25
	s_delay_alu instid0(SALU_CYCLE_1) | instskip(NEXT) | instid1(SALU_CYCLE_1)
	s_or_b32 s27, s29, s27
	s_and_not1_b32 exec_lo, exec_lo, s27
	s_cbranch_execz .LBB24_108
.LBB24_102:                             ; =>This Loop Header: Depth=1
                                        ;     Child Loop BB24_105 Depth 2
	s_or_b32 s25, s25, exec_lo
	s_cmp_eq_u32 s28, 0
	s_cbranch_scc1 .LBB24_107
; %bb.103:                              ;   in Loop: Header=BB24_102 Depth=1
	s_add_i32 s28, s28, -1
	s_mov_b32 s29, exec_lo
	v_lshl_or_b32 v4, s28, 8, v1
	s_delay_alu instid0(VALU_DEP_1) | instskip(NEXT) | instid1(VALU_DEP_1)
	v_lshlrev_b64 v[6:7], 2, v[4:5]
	v_add_co_u32 v6, s25, s68, v6
	s_delay_alu instid0(VALU_DEP_1) | instskip(SKIP_3) | instid1(VALU_DEP_1)
	v_add_co_ci_u32_e64 v7, s25, s69, v7, s25
	global_load_b32 v14, v[6:7], off glc
	s_waitcnt vmcnt(0)
	v_and_b32_e32 v4, -2.0, v14
	v_cmpx_eq_u32_e32 0, v4
	s_cbranch_execz .LBB24_101
; %bb.104:                              ;   in Loop: Header=BB24_102 Depth=1
	s_mov_b32 s30, 0
.LBB24_105:                             ;   Parent Loop BB24_102 Depth=1
                                        ; =>  This Inner Loop Header: Depth=2
	global_load_b32 v14, v[6:7], off glc
	s_waitcnt vmcnt(0)
	v_and_b32_e32 v4, -2.0, v14
	s_delay_alu instid0(VALU_DEP_1) | instskip(NEXT) | instid1(VALU_DEP_1)
	v_cmp_ne_u32_e64 s25, 0, v4
	s_or_b32 s30, s25, s30
	s_delay_alu instid0(SALU_CYCLE_1)
	s_and_not1_b32 exec_lo, exec_lo, s30
	s_cbranch_execnz .LBB24_105
; %bb.106:                              ;   in Loop: Header=BB24_102 Depth=1
	s_or_b32 exec_lo, exec_lo, s30
	s_branch .LBB24_101
.LBB24_107:                             ;   in Loop: Header=BB24_102 Depth=1
                                        ; implicit-def: $sgpr28
	s_and_b32 s29, exec_lo, s25
	s_delay_alu instid0(SALU_CYCLE_1) | instskip(NEXT) | instid1(SALU_CYCLE_1)
	s_or_b32 s27, s29, s27
	s_and_not1_b32 exec_lo, exec_lo, s27
	s_cbranch_execnz .LBB24_102
.LBB24_108:
	s_or_b32 exec_lo, exec_lo, s27
	v_add_nc_u32_e32 v4, v13, v9
	v_lshlrev_b32_e32 v5, 3, v1
	s_delay_alu instid0(VALU_DEP_2) | instskip(SKIP_3) | instid1(VALU_DEP_1)
	v_or_b32_e32 v4, 0x80000000, v4
	global_store_b32 v[2:3], v4, off
	global_load_b64 v[2:3], v5, s[60:61]
	v_sub_co_u32 v4, s25, v13, v8
	v_sub_co_ci_u32_e64 v6, null, 0, 0, s25
	s_waitcnt vmcnt(0)
	s_delay_alu instid0(VALU_DEP_2) | instskip(NEXT) | instid1(VALU_DEP_1)
	v_add_co_u32 v2, s25, v4, v2
	v_add_co_ci_u32_e64 v3, s25, v6, v3, s25
	ds_store_b64 v5, v[2:3]
.LBB24_109:
	s_or_b32 exec_lo, exec_lo, s26
	v_cmp_gt_u32_e64 s25, s48, v1
	s_waitcnt lgkmcnt(0)
	s_waitcnt_vscnt null, 0x0
	s_barrier
	buffer_gl0_inv
	s_and_saveexec_b32 s27, s25
	s_cbranch_execz .LBB24_111
; %bb.110:
	ds_load_b32 v4, v12 offset:2048
	s_waitcnt lgkmcnt(0)
	v_lshrrev_b32_e32 v2, s64, v4
	v_xor_b32_e32 v4, 0x80000000, v4
	s_delay_alu instid0(VALU_DEP_2) | instskip(NEXT) | instid1(VALU_DEP_1)
	v_and_b32_e32 v2, s51, v2
	v_lshlrev_b32_e32 v2, 3, v2
	ds_load_b64 v[2:3], v2
	s_waitcnt lgkmcnt(0)
	v_lshlrev_b64 v[2:3], 2, v[2:3]
	s_delay_alu instid0(VALU_DEP_1) | instskip(NEXT) | instid1(VALU_DEP_1)
	v_add_co_u32 v2, s26, s54, v2
	v_add_co_ci_u32_e64 v3, s26, s55, v3, s26
	s_delay_alu instid0(VALU_DEP_2) | instskip(NEXT) | instid1(VALU_DEP_1)
	v_add_co_u32 v2, s26, v2, v12
	v_add_co_ci_u32_e64 v3, s26, 0, v3, s26
	global_store_b32 v[2:3], v4, off
.LBB24_111:
	s_or_b32 exec_lo, exec_lo, s27
	v_add_nc_u32_e32 v2, 0x200, v1
	s_delay_alu instid0(VALU_DEP_1) | instskip(NEXT) | instid1(VALU_DEP_1)
	v_cmp_gt_u32_e64 s26, s48, v2
	s_and_saveexec_b32 s28, s26
	s_cbranch_execz .LBB24_113
; %bb.112:
	ds_load_b32 v4, v12 offset:4096
	s_waitcnt lgkmcnt(0)
	v_lshrrev_b32_e32 v2, s64, v4
	v_xor_b32_e32 v4, 0x80000000, v4
	s_delay_alu instid0(VALU_DEP_2) | instskip(NEXT) | instid1(VALU_DEP_1)
	v_and_b32_e32 v2, s51, v2
	v_lshlrev_b32_e32 v2, 3, v2
	ds_load_b64 v[2:3], v2
	s_waitcnt lgkmcnt(0)
	v_lshlrev_b64 v[2:3], 2, v[2:3]
	s_delay_alu instid0(VALU_DEP_1) | instskip(NEXT) | instid1(VALU_DEP_1)
	v_add_co_u32 v2, s27, s54, v2
	v_add_co_ci_u32_e64 v3, s27, s55, v3, s27
	s_delay_alu instid0(VALU_DEP_2) | instskip(NEXT) | instid1(VALU_DEP_1)
	v_add_co_u32 v2, s27, v2, v12
	v_add_co_ci_u32_e64 v3, s27, 0, v3, s27
	global_store_b32 v[2:3], v4, off offset:2048
.LBB24_113:
	s_or_b32 exec_lo, exec_lo, s28
	v_or_b32_e32 v2, 0x400, v1
	s_delay_alu instid0(VALU_DEP_1) | instskip(NEXT) | instid1(VALU_DEP_1)
	v_cmp_gt_u32_e64 s27, s48, v2
	s_and_saveexec_b32 s29, s27
	s_cbranch_execz .LBB24_115
; %bb.114:
	ds_load_b32 v5, v12 offset:6144
	v_lshlrev_b32_e32 v2, 2, v2
	s_waitcnt lgkmcnt(0)
	v_lshrrev_b32_e32 v3, s64, v5
	v_xor_b32_e32 v5, 0x80000000, v5
	s_delay_alu instid0(VALU_DEP_2) | instskip(NEXT) | instid1(VALU_DEP_1)
	v_and_b32_e32 v3, s51, v3
	v_lshlrev_b32_e32 v3, 3, v3
	ds_load_b64 v[3:4], v3
	s_waitcnt lgkmcnt(0)
	v_lshlrev_b64 v[3:4], 2, v[3:4]
	s_delay_alu instid0(VALU_DEP_1) | instskip(NEXT) | instid1(VALU_DEP_1)
	v_add_co_u32 v3, s28, s54, v3
	v_add_co_ci_u32_e64 v4, s28, s55, v4, s28
	s_delay_alu instid0(VALU_DEP_2) | instskip(NEXT) | instid1(VALU_DEP_1)
	v_add_co_u32 v2, s28, v3, v2
	v_add_co_ci_u32_e64 v3, s28, 0, v4, s28
	global_store_b32 v[2:3], v5, off
.LBB24_115:
	s_or_b32 exec_lo, exec_lo, s29
	v_add_nc_u32_e32 v2, 0x600, v1
	s_delay_alu instid0(VALU_DEP_1) | instskip(NEXT) | instid1(VALU_DEP_1)
	v_cmp_gt_u32_e64 s28, s48, v2
	s_and_saveexec_b32 s30, s28
	s_cbranch_execz .LBB24_117
; %bb.116:
	ds_load_b32 v5, v12 offset:8192
	v_lshlrev_b32_e32 v2, 2, v2
	s_waitcnt lgkmcnt(0)
	v_lshrrev_b32_e32 v3, s64, v5
	v_xor_b32_e32 v5, 0x80000000, v5
	s_delay_alu instid0(VALU_DEP_2) | instskip(NEXT) | instid1(VALU_DEP_1)
	v_and_b32_e32 v3, s51, v3
	v_lshlrev_b32_e32 v3, 3, v3
	ds_load_b64 v[3:4], v3
	s_waitcnt lgkmcnt(0)
	v_lshlrev_b64 v[3:4], 2, v[3:4]
	s_delay_alu instid0(VALU_DEP_1) | instskip(NEXT) | instid1(VALU_DEP_1)
	v_add_co_u32 v3, s29, s54, v3
	v_add_co_ci_u32_e64 v4, s29, s55, v4, s29
	s_delay_alu instid0(VALU_DEP_2) | instskip(NEXT) | instid1(VALU_DEP_1)
	v_add_co_u32 v2, s29, v3, v2
	v_add_co_ci_u32_e64 v3, s29, 0, v4, s29
	global_store_b32 v[2:3], v5, off
.LBB24_117:
	s_or_b32 exec_lo, exec_lo, s30
	v_or_b32_e32 v2, 0x800, v1
	s_delay_alu instid0(VALU_DEP_1) | instskip(NEXT) | instid1(VALU_DEP_1)
	v_cmp_gt_u32_e64 s29, s48, v2
	s_and_saveexec_b32 s31, s29
	s_cbranch_execz .LBB24_119
; %bb.118:
	ds_load_b32 v5, v12 offset:10240
	v_lshlrev_b32_e32 v2, 2, v2
	s_waitcnt lgkmcnt(0)
	v_lshrrev_b32_e32 v3, s64, v5
	v_xor_b32_e32 v5, 0x80000000, v5
	s_delay_alu instid0(VALU_DEP_2) | instskip(NEXT) | instid1(VALU_DEP_1)
	v_and_b32_e32 v3, s51, v3
	v_lshlrev_b32_e32 v3, 3, v3
	ds_load_b64 v[3:4], v3
	s_waitcnt lgkmcnt(0)
	v_lshlrev_b64 v[3:4], 2, v[3:4]
	s_delay_alu instid0(VALU_DEP_1) | instskip(NEXT) | instid1(VALU_DEP_1)
	v_add_co_u32 v3, s30, s54, v3
	v_add_co_ci_u32_e64 v4, s30, s55, v4, s30
	s_delay_alu instid0(VALU_DEP_2) | instskip(NEXT) | instid1(VALU_DEP_1)
	v_add_co_u32 v2, s30, v3, v2
	v_add_co_ci_u32_e64 v3, s30, 0, v4, s30
	global_store_b32 v[2:3], v5, off
.LBB24_119:
	s_or_b32 exec_lo, exec_lo, s31
	v_add_nc_u32_e32 v2, 0xa00, v1
	s_delay_alu instid0(VALU_DEP_1) | instskip(NEXT) | instid1(VALU_DEP_1)
	v_cmp_gt_u32_e64 s30, s48, v2
	s_and_saveexec_b32 s33, s30
	s_cbranch_execz .LBB24_121
; %bb.120:
	ds_load_b32 v5, v12 offset:12288
	v_lshlrev_b32_e32 v2, 2, v2
	s_waitcnt lgkmcnt(0)
	v_lshrrev_b32_e32 v3, s64, v5
	v_xor_b32_e32 v5, 0x80000000, v5
	s_delay_alu instid0(VALU_DEP_2) | instskip(NEXT) | instid1(VALU_DEP_1)
	v_and_b32_e32 v3, s51, v3
	v_lshlrev_b32_e32 v3, 3, v3
	ds_load_b64 v[3:4], v3
	s_waitcnt lgkmcnt(0)
	v_lshlrev_b64 v[3:4], 2, v[3:4]
	s_delay_alu instid0(VALU_DEP_1) | instskip(NEXT) | instid1(VALU_DEP_1)
	v_add_co_u32 v3, s31, s54, v3
	v_add_co_ci_u32_e64 v4, s31, s55, v4, s31
	s_delay_alu instid0(VALU_DEP_2) | instskip(NEXT) | instid1(VALU_DEP_1)
	v_add_co_u32 v2, s31, v3, v2
	v_add_co_ci_u32_e64 v3, s31, 0, v4, s31
	global_store_b32 v[2:3], v5, off
.LBB24_121:
	;; [unrolled: 52-line block ×10, first 2 shown]
	s_or_b32 exec_lo, exec_lo, s66
	s_add_u32 s48, s56, s50
	s_addc_u32 s66, s57, 0
	v_add_co_u32 v2, s48, s48, v11
	s_delay_alu instid0(VALU_DEP_1) | instskip(NEXT) | instid1(VALU_DEP_2)
	v_add_co_ci_u32_e64 v3, null, s66, 0, s48
	v_add_co_u32 v2, s48, v2, v10
	s_delay_alu instid0(VALU_DEP_1) | instskip(SKIP_1) | instid1(SALU_CYCLE_1)
	v_add_co_ci_u32_e64 v3, s48, 0, v3, s48
                                        ; implicit-def: $vgpr10
	s_and_saveexec_b32 s48, vcc_lo
	s_xor_b32 s48, exec_lo, s48
	s_cbranch_execnz .LBB24_297
; %bb.154:
	s_or_b32 exec_lo, exec_lo, s48
                                        ; implicit-def: $vgpr45
	s_and_saveexec_b32 s48, s2
	s_cbranch_execnz .LBB24_298
.LBB24_155:
	s_or_b32 exec_lo, exec_lo, s48
                                        ; implicit-def: $vgpr46
	s_and_saveexec_b32 s2, s3
	s_cbranch_execnz .LBB24_299
.LBB24_156:
	s_or_b32 exec_lo, exec_lo, s2
                                        ; implicit-def: $vgpr47
	s_and_saveexec_b32 s2, s4
	s_cbranch_execnz .LBB24_300
.LBB24_157:
	s_or_b32 exec_lo, exec_lo, s2
                                        ; implicit-def: $vgpr48
	s_and_saveexec_b32 s2, s5
	s_cbranch_execnz .LBB24_301
.LBB24_158:
	s_or_b32 exec_lo, exec_lo, s2
                                        ; implicit-def: $vgpr49
	s_and_saveexec_b32 s2, s6
	s_cbranch_execnz .LBB24_302
.LBB24_159:
	s_or_b32 exec_lo, exec_lo, s2
                                        ; implicit-def: $vgpr50
	s_and_saveexec_b32 s2, s7
	s_cbranch_execnz .LBB24_303
.LBB24_160:
	s_or_b32 exec_lo, exec_lo, s2
                                        ; implicit-def: $vgpr51
	s_and_saveexec_b32 s2, s8
	s_cbranch_execnz .LBB24_304
.LBB24_161:
	s_or_b32 exec_lo, exec_lo, s2
                                        ; implicit-def: $vgpr52
	s_and_saveexec_b32 s2, s9
	s_cbranch_execnz .LBB24_305
.LBB24_162:
	s_or_b32 exec_lo, exec_lo, s2
                                        ; implicit-def: $vgpr53
	s_and_saveexec_b32 s2, s10
	s_cbranch_execnz .LBB24_306
.LBB24_163:
	s_or_b32 exec_lo, exec_lo, s2
                                        ; implicit-def: $vgpr54
	s_and_saveexec_b32 s2, s11
	s_cbranch_execnz .LBB24_307
.LBB24_164:
	s_or_b32 exec_lo, exec_lo, s2
                                        ; implicit-def: $vgpr55
	s_and_saveexec_b32 s2, s12
	s_cbranch_execnz .LBB24_308
.LBB24_165:
	s_or_b32 exec_lo, exec_lo, s2
                                        ; implicit-def: $vgpr56
	s_and_saveexec_b32 s2, s13
	s_cbranch_execnz .LBB24_309
.LBB24_166:
	s_or_b32 exec_lo, exec_lo, s2
                                        ; implicit-def: $vgpr58
	s_and_saveexec_b32 s2, s14
	s_cbranch_execnz .LBB24_310
.LBB24_167:
	s_or_b32 exec_lo, exec_lo, s2
                                        ; implicit-def: $vgpr61
	s_and_saveexec_b32 s2, s16
	s_cbranch_execnz .LBB24_311
.LBB24_168:
	s_or_b32 exec_lo, exec_lo, s2
                                        ; implicit-def: $vgpr65
	s_and_saveexec_b32 s2, s17
	s_cbranch_execnz .LBB24_312
.LBB24_169:
	s_or_b32 exec_lo, exec_lo, s2
                                        ; implicit-def: $vgpr68
	s_and_saveexec_b32 s2, s18
	s_cbranch_execnz .LBB24_313
.LBB24_170:
	s_or_b32 exec_lo, exec_lo, s2
                                        ; implicit-def: $vgpr71
	s_and_saveexec_b32 s2, s19
	s_cbranch_execnz .LBB24_314
.LBB24_171:
	s_or_b32 exec_lo, exec_lo, s2
                                        ; implicit-def: $vgpr74
	s_and_saveexec_b32 s2, s20
	s_cbranch_execnz .LBB24_315
.LBB24_172:
	s_or_b32 exec_lo, exec_lo, s2
                                        ; implicit-def: $vgpr77
	s_and_saveexec_b32 s2, s21
	s_cbranch_execnz .LBB24_316
.LBB24_173:
	s_or_b32 exec_lo, exec_lo, s2
                                        ; implicit-def: $vgpr81
	s_and_saveexec_b32 s2, s22
	s_cbranch_execnz .LBB24_317
.LBB24_174:
	s_or_b32 exec_lo, exec_lo, s2
                                        ; implicit-def: $vgpr84
	s_and_saveexec_b32 s2, s23
	s_cbranch_execnz .LBB24_318
.LBB24_175:
	s_or_b32 exec_lo, exec_lo, s2
                                        ; implicit-def: $vgpr85
	s_and_saveexec_b32 s2, s25
	s_cbranch_execnz .LBB24_319
.LBB24_176:
	s_or_b32 exec_lo, exec_lo, s2
                                        ; implicit-def: $vgpr83
	s_and_saveexec_b32 s2, s26
	s_cbranch_execnz .LBB24_320
.LBB24_177:
	s_or_b32 exec_lo, exec_lo, s2
                                        ; implicit-def: $vgpr82
	s_and_saveexec_b32 s2, s27
	s_cbranch_execnz .LBB24_321
.LBB24_178:
	s_or_b32 exec_lo, exec_lo, s2
                                        ; implicit-def: $vgpr80
	s_and_saveexec_b32 s2, s28
	s_cbranch_execnz .LBB24_322
.LBB24_179:
	s_or_b32 exec_lo, exec_lo, s2
                                        ; implicit-def: $vgpr79
	s_and_saveexec_b32 s2, s29
	s_cbranch_execnz .LBB24_323
.LBB24_180:
	s_or_b32 exec_lo, exec_lo, s2
                                        ; implicit-def: $vgpr78
	s_and_saveexec_b32 s2, s30
	s_cbranch_execnz .LBB24_324
.LBB24_181:
	s_or_b32 exec_lo, exec_lo, s2
                                        ; implicit-def: $vgpr76
	s_and_saveexec_b32 s2, s31
	s_cbranch_execnz .LBB24_325
.LBB24_182:
	s_or_b32 exec_lo, exec_lo, s2
                                        ; implicit-def: $vgpr75
	s_and_saveexec_b32 s2, s33
	s_cbranch_execnz .LBB24_326
.LBB24_183:
	s_or_b32 exec_lo, exec_lo, s2
                                        ; implicit-def: $vgpr73
	s_and_saveexec_b32 s2, s34
	s_cbranch_execnz .LBB24_327
.LBB24_184:
	s_or_b32 exec_lo, exec_lo, s2
                                        ; implicit-def: $vgpr72
	s_and_saveexec_b32 s2, s35
	s_cbranch_execnz .LBB24_328
.LBB24_185:
	s_or_b32 exec_lo, exec_lo, s2
                                        ; implicit-def: $vgpr70
	s_and_saveexec_b32 s2, s36
	s_cbranch_execnz .LBB24_329
.LBB24_186:
	s_or_b32 exec_lo, exec_lo, s2
                                        ; implicit-def: $vgpr69
	s_and_saveexec_b32 s2, s37
	s_cbranch_execnz .LBB24_330
.LBB24_187:
	s_or_b32 exec_lo, exec_lo, s2
                                        ; implicit-def: $vgpr67
	s_and_saveexec_b32 s2, s38
	s_cbranch_execnz .LBB24_331
.LBB24_188:
	s_or_b32 exec_lo, exec_lo, s2
                                        ; implicit-def: $vgpr66
	s_and_saveexec_b32 s2, s39
	s_cbranch_execnz .LBB24_332
.LBB24_189:
	s_or_b32 exec_lo, exec_lo, s2
                                        ; implicit-def: $vgpr64
	s_and_saveexec_b32 s2, s40
	s_cbranch_execnz .LBB24_333
.LBB24_190:
	s_or_b32 exec_lo, exec_lo, s2
                                        ; implicit-def: $vgpr63
	s_and_saveexec_b32 s2, s41
	s_cbranch_execnz .LBB24_334
.LBB24_191:
	s_or_b32 exec_lo, exec_lo, s2
                                        ; implicit-def: $vgpr62
	s_and_saveexec_b32 s2, s42
	s_cbranch_execnz .LBB24_335
.LBB24_192:
	s_or_b32 exec_lo, exec_lo, s2
                                        ; implicit-def: $vgpr60
	s_and_saveexec_b32 s2, s43
	s_cbranch_execnz .LBB24_336
.LBB24_193:
	s_or_b32 exec_lo, exec_lo, s2
                                        ; implicit-def: $vgpr59
	s_and_saveexec_b32 s2, s44
	s_cbranch_execnz .LBB24_337
.LBB24_194:
	s_or_b32 exec_lo, exec_lo, s2
                                        ; implicit-def: $vgpr57
	s_and_saveexec_b32 s2, s45
	s_cbranch_execnz .LBB24_338
.LBB24_195:
	s_or_b32 exec_lo, exec_lo, s2
                                        ; implicit-def: $vgpr3
	s_and_saveexec_b32 s2, s46
	s_cbranch_execnz .LBB24_339
.LBB24_196:
	s_or_b32 exec_lo, exec_lo, s2
                                        ; implicit-def: $vgpr2
	s_and_saveexec_b32 s2, s47
	s_cbranch_execz .LBB24_198
.LBB24_197:
	ds_load_b32 v2, v12 offset:45056
	s_waitcnt lgkmcnt(0)
	v_lshrrev_b32_e32 v2, s64, v2
	s_delay_alu instid0(VALU_DEP_1)
	v_and_b32_e32 v2, s51, v2
.LBB24_198:
	s_or_b32 exec_lo, exec_lo, s2
	s_waitcnt vmcnt(0)
	s_waitcnt_vscnt null, 0x0
	s_barrier
	buffer_gl0_inv
	ds_store_b8 v15, v10 offset:2048
	ds_store_b8 v16, v45 offset:2048
	ds_store_b8 v17, v46 offset:2048
	ds_store_b8 v19, v47 offset:2048
	ds_store_b8 v20, v48 offset:2048
	ds_store_b8 v21, v49 offset:2048
	ds_store_b8 v23, v50 offset:2048
	ds_store_b8 v24, v51 offset:2048
	ds_store_b8 v25, v52 offset:2048
	ds_store_b8 v27, v53 offset:2048
	ds_store_b8 v28, v54 offset:2048
	ds_store_b8 v29, v55 offset:2048
	ds_store_b8 v31, v56 offset:2048
	ds_store_b8 v32, v58 offset:2048
	ds_store_b8 v33, v61 offset:2048
	ds_store_b8 v35, v65 offset:2048
	ds_store_b8 v36, v68 offset:2048
	ds_store_b8 v37, v71 offset:2048
	ds_store_b8 v39, v74 offset:2048
	ds_store_b8 v40, v77 offset:2048
	ds_store_b8 v41, v81 offset:2048
	ds_store_b8 v42, v84 offset:2048
	s_waitcnt lgkmcnt(0)
	s_barrier
	buffer_gl0_inv
	s_and_saveexec_b32 s2, s25
	s_cbranch_execnz .LBB24_340
; %bb.199:
	s_or_b32 exec_lo, exec_lo, s2
	s_and_saveexec_b32 s2, s26
	s_cbranch_execnz .LBB24_341
.LBB24_200:
	s_or_b32 exec_lo, exec_lo, s2
	s_and_saveexec_b32 s2, s27
	s_cbranch_execnz .LBB24_342
.LBB24_201:
	s_or_b32 exec_lo, exec_lo, s2
	s_and_saveexec_b32 s2, s28
	s_cbranch_execnz .LBB24_343
.LBB24_202:
	s_or_b32 exec_lo, exec_lo, s2
	s_and_saveexec_b32 s2, s29
	s_cbranch_execnz .LBB24_344
.LBB24_203:
	s_or_b32 exec_lo, exec_lo, s2
	s_and_saveexec_b32 s2, s30
	s_cbranch_execnz .LBB24_345
.LBB24_204:
	s_or_b32 exec_lo, exec_lo, s2
	s_and_saveexec_b32 s2, s31
	s_cbranch_execnz .LBB24_346
.LBB24_205:
	s_or_b32 exec_lo, exec_lo, s2
	s_and_saveexec_b32 s2, s33
	s_cbranch_execnz .LBB24_347
.LBB24_206:
	s_or_b32 exec_lo, exec_lo, s2
	s_and_saveexec_b32 s2, s34
	s_cbranch_execnz .LBB24_348
.LBB24_207:
	s_or_b32 exec_lo, exec_lo, s2
	s_and_saveexec_b32 s2, s35
	s_cbranch_execnz .LBB24_349
.LBB24_208:
	s_or_b32 exec_lo, exec_lo, s2
	s_and_saveexec_b32 s2, s36
	s_cbranch_execnz .LBB24_350
.LBB24_209:
	s_or_b32 exec_lo, exec_lo, s2
	s_and_saveexec_b32 s2, s37
	s_cbranch_execnz .LBB24_351
.LBB24_210:
	s_or_b32 exec_lo, exec_lo, s2
	s_and_saveexec_b32 s2, s38
	s_cbranch_execnz .LBB24_352
.LBB24_211:
	s_or_b32 exec_lo, exec_lo, s2
	s_and_saveexec_b32 s2, s39
	s_cbranch_execnz .LBB24_353
.LBB24_212:
	s_or_b32 exec_lo, exec_lo, s2
	s_and_saveexec_b32 s2, s40
	s_cbranch_execnz .LBB24_354
.LBB24_213:
	s_or_b32 exec_lo, exec_lo, s2
	s_and_saveexec_b32 s2, s41
	s_cbranch_execnz .LBB24_355
.LBB24_214:
	s_or_b32 exec_lo, exec_lo, s2
	s_and_saveexec_b32 s2, s42
	s_cbranch_execnz .LBB24_356
.LBB24_215:
	s_or_b32 exec_lo, exec_lo, s2
	s_and_saveexec_b32 s2, s43
	s_cbranch_execnz .LBB24_357
.LBB24_216:
	s_or_b32 exec_lo, exec_lo, s2
	s_and_saveexec_b32 s2, s44
	s_cbranch_execnz .LBB24_358
.LBB24_217:
	s_or_b32 exec_lo, exec_lo, s2
	s_and_saveexec_b32 s2, s45
	s_cbranch_execnz .LBB24_359
.LBB24_218:
	s_or_b32 exec_lo, exec_lo, s2
	s_and_saveexec_b32 s2, s46
	s_cbranch_execnz .LBB24_360
.LBB24_219:
	s_or_b32 exec_lo, exec_lo, s2
	s_and_saveexec_b32 s2, s47
	s_cbranch_execz .LBB24_221
.LBB24_220:
	v_lshlrev_b32_e32 v2, 3, v2
	ds_load_b64 v[2:3], v2
	ds_load_u8 v4, v1 offset:12800
	s_waitcnt lgkmcnt(1)
	v_add_co_u32 v2, vcc_lo, s58, v2
	v_add_co_ci_u32_e32 v3, vcc_lo, s59, v3, vcc_lo
	s_delay_alu instid0(VALU_DEP_2) | instskip(NEXT) | instid1(VALU_DEP_2)
	v_add_co_u32 v2, vcc_lo, v2, v44
	v_add_co_ci_u32_e32 v3, vcc_lo, 0, v3, vcc_lo
	s_waitcnt lgkmcnt(0)
	global_store_b8 v[2:3], v4, off
.LBB24_221:
	s_or_b32 exec_lo, exec_lo, s2
	s_add_i32 s49, s49, -1
	s_mov_b32 s2, 0
	s_cmp_eq_u32 s15, s49
	s_mov_b32 s4, 0
	s_cselect_b32 s3, -1, 0
                                        ; implicit-def: $vgpr5_vgpr6
	s_delay_alu instid0(SALU_CYCLE_1) | instskip(NEXT) | instid1(SALU_CYCLE_1)
	s_and_b32 s3, s24, s3
	s_and_saveexec_b32 s5, s3
	s_delay_alu instid0(SALU_CYCLE_1)
	s_xor_b32 s3, exec_lo, s5
; %bb.222:
	v_add_co_u32 v5, s5, v8, v9
	v_mov_b32_e32 v2, 0
	v_add_co_ci_u32_e64 v6, null, 0, 0, s5
	s_mov_b32 s4, exec_lo
; %bb.223:
	s_or_b32 exec_lo, exec_lo, s3
	s_delay_alu instid0(SALU_CYCLE_1)
	s_and_b32 vcc_lo, exec_lo, s2
	s_cbranch_vccnz .LBB24_225
	s_branch .LBB24_294
.LBB24_224:
	s_mov_b32 s4, 0
                                        ; implicit-def: $vgpr5_vgpr6
	s_cbranch_execz .LBB24_294
.LBB24_225:
	v_dual_mov_b32 v16, 0 :: v_dual_and_b32 v13, 0x1e0, v1
	s_mov_b32 s51, 0
	v_lshlrev_b32_e32 v2, 2, v11
	s_lshl_b64 s[2:3], s[50:51], 2
	s_delay_alu instid0(VALU_DEP_2) | instskip(SKIP_3) | instid1(VALU_DEP_2)
	v_mul_u32_u24_e32 v12, 22, v13
	s_add_u32 s2, s52, s2
	s_addc_u32 s3, s53, s3
	v_add_co_u32 v2, s2, s2, v2
	v_lshlrev_b32_e32 v3, 2, v12
	v_add_co_ci_u32_e64 v4, null, s3, 0, s2
	v_bfe_u32 v15, v0, 10, 10
	v_bfe_u32 v0, v0, 20, 10
	s_delay_alu instid0(VALU_DEP_4) | instskip(NEXT) | instid1(VALU_DEP_4)
	v_add_co_u32 v2, vcc_lo, v2, v3
	v_add_co_ci_u32_e32 v3, vcc_lo, 0, v4, vcc_lo
	global_load_b32 v10, v[2:3], off
	s_clause 0x1
	s_load_b32 s2, s[0:1], 0x5c
	s_load_b32 s5, s[0:1], 0x50
	s_add_u32 s0, s0, 0x50
	s_addc_u32 s1, s1, 0
	s_waitcnt lgkmcnt(0)
	s_lshr_b32 s2, s2, 16
	s_cmp_lt_u32 s15, s5
	v_mad_u32_u24 v0, v0, s2, v15
	s_cselect_b32 s3, 12, 18
	s_delay_alu instid0(SALU_CYCLE_1)
	s_add_u32 s0, s0, s3
	s_addc_u32 s1, s1, 0
	global_load_u16 v14, v16, s[0:1]
	s_clause 0x14
	global_load_b32 v18, v[2:3], off offset:128
	global_load_b32 v17, v[2:3], off offset:256
	;; [unrolled: 1-line block ×21, first 2 shown]
	s_lshl_b32 s0, -1, s65
	s_delay_alu instid0(SALU_CYCLE_1) | instskip(SKIP_2) | instid1(VALU_DEP_1)
	s_not_b32 s6, s0
	s_waitcnt vmcnt(22)
	v_xor_b32_e32 v10, 0x80000000, v10
	v_lshrrev_b32_e32 v3, s64, v10
	s_delay_alu instid0(VALU_DEP_1) | instskip(NEXT) | instid1(VALU_DEP_1)
	v_and_b32_e32 v3, s6, v3
	v_and_b32_e32 v19, 1, v3
	v_lshlrev_b32_e32 v20, 30, v3
	v_lshlrev_b32_e32 v22, 29, v3
	;; [unrolled: 1-line block ×4, first 2 shown]
	v_add_co_u32 v19, s0, v19, -1
	s_delay_alu instid0(VALU_DEP_1)
	v_cndmask_b32_e64 v24, 0, 1, s0
	v_not_b32_e32 v30, v20
	v_cmp_gt_i32_e64 s0, 0, v20
	v_not_b32_e32 v20, v22
	v_lshlrev_b32_e32 v27, 26, v3
	v_cmp_ne_u32_e32 vcc_lo, 0, v24
	v_ashrrev_i32_e32 v30, 31, v30
	v_lshlrev_b32_e32 v28, 25, v3
	v_ashrrev_i32_e32 v20, 31, v20
	v_lshlrev_b32_e32 v24, 24, v3
	v_xor_b32_e32 v19, vcc_lo, v19
	v_cmp_gt_i32_e32 vcc_lo, 0, v22
	v_not_b32_e32 v22, v23
	v_xor_b32_e32 v30, s0, v30
	v_cmp_gt_i32_e64 s0, 0, v23
	v_and_b32_e32 v19, exec_lo, v19
	v_not_b32_e32 v23, v26
	v_ashrrev_i32_e32 v22, 31, v22
	v_xor_b32_e32 v20, vcc_lo, v20
	v_cmp_gt_i32_e32 vcc_lo, 0, v26
	v_and_b32_e32 v19, v19, v30
	v_not_b32_e32 v26, v27
	v_ashrrev_i32_e32 v23, 31, v23
	v_xor_b32_e32 v22, s0, v22
	v_cmp_gt_i32_e64 s0, 0, v27
	v_and_b32_e32 v19, v19, v20
	v_not_b32_e32 v20, v28
	v_ashrrev_i32_e32 v26, 31, v26
	v_xor_b32_e32 v23, vcc_lo, v23
	v_cmp_gt_i32_e32 vcc_lo, 0, v28
	v_and_b32_e32 v19, v19, v22
	v_not_b32_e32 v22, v24
	v_ashrrev_i32_e32 v20, 31, v20
	v_xor_b32_e32 v26, s0, v26
	v_cmp_gt_i32_e64 s0, 0, v24
	v_and_b32_e32 v19, v19, v23
	v_ashrrev_i32_e32 v22, 31, v22
	v_xor_b32_e32 v20, vcc_lo, v20
	v_mul_u32_u24_e32 v23, 9, v1
	s_delay_alu instid0(VALU_DEP_4) | instskip(NEXT) | instid1(VALU_DEP_4)
	v_and_b32_e32 v19, v19, v26
	v_xor_b32_e32 v22, s0, v22
	s_delay_alu instid0(VALU_DEP_3)
	v_lshlrev_b32_e32 v15, 2, v23
	ds_store_2addr_b32 v15, v16, v16 offset0:16 offset1:17
	ds_store_2addr_b32 v15, v16, v16 offset0:18 offset1:19
	;; [unrolled: 1-line block ×4, first 2 shown]
	v_and_b32_e32 v24, v19, v20
	s_waitcnt vmcnt(0)
	v_mad_u64_u32 v[19:20], null, v0, v14, v[1:2]
	ds_store_b32 v15, v16 offset:96
	v_lshl_add_u32 v16, v3, 4, v3
	v_and_b32_e32 v0, v24, v22
	s_waitcnt lgkmcnt(0)
	s_waitcnt_vscnt null, 0x0
	s_barrier
	buffer_gl0_inv
	v_lshrrev_b32_e32 v3, 5, v19
	v_mbcnt_lo_u32_b32 v14, v0, 0
	v_cmp_ne_u32_e64 s0, 0, v0
	; wave barrier
	s_delay_alu instid0(VALU_DEP_3) | instskip(NEXT) | instid1(VALU_DEP_3)
	v_add_lshl_u32 v16, v3, v16, 2
	v_cmp_eq_u32_e32 vcc_lo, 0, v14
	s_delay_alu instid0(VALU_DEP_3) | instskip(NEXT) | instid1(SALU_CYCLE_1)
	s_and_b32 s1, s0, vcc_lo
	s_and_saveexec_b32 s0, s1
	s_cbranch_execz .LBB24_227
; %bb.226:
	v_bcnt_u32_b32 v0, v0, 0
	ds_store_b32 v16, v0 offset:64
.LBB24_227:
	s_or_b32 exec_lo, exec_lo, s0
	v_xor_b32_e32 v0, 0x80000000, v18
	; wave barrier
	s_delay_alu instid0(VALU_DEP_1) | instskip(NEXT) | instid1(VALU_DEP_1)
	v_lshrrev_b32_e32 v18, s64, v0
	v_and_b32_e32 v18, s6, v18
	s_delay_alu instid0(VALU_DEP_1)
	v_and_b32_e32 v19, 1, v18
	v_lshlrev_b32_e32 v20, 30, v18
	v_lshlrev_b32_e32 v22, 29, v18
	;; [unrolled: 1-line block ×4, first 2 shown]
	v_add_co_u32 v19, s0, v19, -1
	s_delay_alu instid0(VALU_DEP_1)
	v_cndmask_b32_e64 v24, 0, 1, s0
	v_not_b32_e32 v30, v20
	v_cmp_gt_i32_e64 s0, 0, v20
	v_not_b32_e32 v20, v22
	v_lshlrev_b32_e32 v27, 26, v18
	v_cmp_ne_u32_e32 vcc_lo, 0, v24
	v_ashrrev_i32_e32 v30, 31, v30
	v_lshlrev_b32_e32 v28, 25, v18
	v_ashrrev_i32_e32 v20, 31, v20
	v_lshlrev_b32_e32 v24, 24, v18
	v_xor_b32_e32 v19, vcc_lo, v19
	v_cmp_gt_i32_e32 vcc_lo, 0, v22
	v_not_b32_e32 v22, v23
	v_xor_b32_e32 v30, s0, v30
	v_cmp_gt_i32_e64 s0, 0, v23
	v_and_b32_e32 v19, exec_lo, v19
	v_not_b32_e32 v23, v26
	v_ashrrev_i32_e32 v22, 31, v22
	v_xor_b32_e32 v20, vcc_lo, v20
	v_cmp_gt_i32_e32 vcc_lo, 0, v26
	v_and_b32_e32 v19, v19, v30
	v_not_b32_e32 v26, v27
	v_ashrrev_i32_e32 v23, 31, v23
	v_xor_b32_e32 v22, s0, v22
	v_cmp_gt_i32_e64 s0, 0, v27
	v_and_b32_e32 v19, v19, v20
	v_not_b32_e32 v20, v28
	v_ashrrev_i32_e32 v26, 31, v26
	v_xor_b32_e32 v23, vcc_lo, v23
	v_cmp_gt_i32_e32 vcc_lo, 0, v28
	v_and_b32_e32 v19, v19, v22
	v_not_b32_e32 v22, v24
	v_ashrrev_i32_e32 v20, 31, v20
	v_xor_b32_e32 v26, s0, v26
	v_lshl_add_u32 v18, v18, 4, v18
	v_and_b32_e32 v19, v19, v23
	v_cmp_gt_i32_e64 s0, 0, v24
	v_ashrrev_i32_e32 v22, 31, v22
	v_xor_b32_e32 v23, vcc_lo, v20
	v_add_lshl_u32 v20, v3, v18, 2
	v_and_b32_e32 v19, v19, v26
	s_delay_alu instid0(VALU_DEP_4) | instskip(SKIP_2) | instid1(VALU_DEP_1)
	v_xor_b32_e32 v22, s0, v22
	ds_load_b32 v18, v20 offset:64
	v_and_b32_e32 v19, v19, v23
	; wave barrier
	v_and_b32_e32 v22, v19, v22
	s_delay_alu instid0(VALU_DEP_1) | instskip(SKIP_1) | instid1(VALU_DEP_2)
	v_mbcnt_lo_u32_b32 v19, v22, 0
	v_cmp_ne_u32_e64 s0, 0, v22
	v_cmp_eq_u32_e32 vcc_lo, 0, v19
	s_delay_alu instid0(VALU_DEP_2) | instskip(NEXT) | instid1(SALU_CYCLE_1)
	s_and_b32 s1, s0, vcc_lo
	s_and_saveexec_b32 s0, s1
	s_cbranch_execz .LBB24_229
; %bb.228:
	s_waitcnt lgkmcnt(0)
	v_bcnt_u32_b32 v22, v22, v18
	ds_store_b32 v20, v22 offset:64
.LBB24_229:
	s_or_b32 exec_lo, exec_lo, s0
	v_xor_b32_e32 v17, 0x80000000, v17
	; wave barrier
	s_delay_alu instid0(VALU_DEP_1) | instskip(NEXT) | instid1(VALU_DEP_1)
	v_lshrrev_b32_e32 v22, s64, v17
	v_and_b32_e32 v22, s6, v22
	s_delay_alu instid0(VALU_DEP_1)
	v_and_b32_e32 v23, 1, v22
	v_lshlrev_b32_e32 v24, 30, v22
	v_lshlrev_b32_e32 v26, 29, v22
	;; [unrolled: 1-line block ×4, first 2 shown]
	v_add_co_u32 v23, s0, v23, -1
	s_delay_alu instid0(VALU_DEP_1)
	v_cndmask_b32_e64 v28, 0, 1, s0
	v_not_b32_e32 v34, v24
	v_cmp_gt_i32_e64 s0, 0, v24
	v_not_b32_e32 v24, v26
	v_lshlrev_b32_e32 v31, 26, v22
	v_cmp_ne_u32_e32 vcc_lo, 0, v28
	v_ashrrev_i32_e32 v34, 31, v34
	v_lshlrev_b32_e32 v32, 25, v22
	v_ashrrev_i32_e32 v24, 31, v24
	v_lshlrev_b32_e32 v28, 24, v22
	v_xor_b32_e32 v23, vcc_lo, v23
	v_cmp_gt_i32_e32 vcc_lo, 0, v26
	v_not_b32_e32 v26, v27
	v_xor_b32_e32 v34, s0, v34
	v_cmp_gt_i32_e64 s0, 0, v27
	v_and_b32_e32 v23, exec_lo, v23
	v_not_b32_e32 v27, v30
	v_ashrrev_i32_e32 v26, 31, v26
	v_xor_b32_e32 v24, vcc_lo, v24
	v_cmp_gt_i32_e32 vcc_lo, 0, v30
	v_and_b32_e32 v23, v23, v34
	v_not_b32_e32 v30, v31
	v_ashrrev_i32_e32 v27, 31, v27
	v_xor_b32_e32 v26, s0, v26
	v_cmp_gt_i32_e64 s0, 0, v31
	v_and_b32_e32 v23, v23, v24
	v_not_b32_e32 v24, v32
	v_ashrrev_i32_e32 v30, 31, v30
	v_xor_b32_e32 v27, vcc_lo, v27
	v_cmp_gt_i32_e32 vcc_lo, 0, v32
	v_and_b32_e32 v23, v23, v26
	v_not_b32_e32 v26, v28
	v_ashrrev_i32_e32 v24, 31, v24
	v_xor_b32_e32 v30, s0, v30
	v_lshl_add_u32 v22, v22, 4, v22
	v_and_b32_e32 v23, v23, v27
	v_cmp_gt_i32_e64 s0, 0, v28
	v_ashrrev_i32_e32 v26, 31, v26
	v_xor_b32_e32 v27, vcc_lo, v24
	v_add_lshl_u32 v24, v3, v22, 2
	v_and_b32_e32 v23, v23, v30
	s_delay_alu instid0(VALU_DEP_4) | instskip(SKIP_2) | instid1(VALU_DEP_1)
	v_xor_b32_e32 v26, s0, v26
	ds_load_b32 v22, v24 offset:64
	v_and_b32_e32 v23, v23, v27
	; wave barrier
	v_and_b32_e32 v26, v23, v26
	s_delay_alu instid0(VALU_DEP_1) | instskip(SKIP_1) | instid1(VALU_DEP_2)
	v_mbcnt_lo_u32_b32 v23, v26, 0
	v_cmp_ne_u32_e64 s0, 0, v26
	v_cmp_eq_u32_e32 vcc_lo, 0, v23
	s_delay_alu instid0(VALU_DEP_2) | instskip(NEXT) | instid1(SALU_CYCLE_1)
	s_and_b32 s1, s0, vcc_lo
	s_and_saveexec_b32 s0, s1
	s_cbranch_execz .LBB24_231
; %bb.230:
	s_waitcnt lgkmcnt(0)
	v_bcnt_u32_b32 v26, v26, v22
	ds_store_b32 v24, v26 offset:64
.LBB24_231:
	s_or_b32 exec_lo, exec_lo, s0
	v_xor_b32_e32 v21, 0x80000000, v21
	; wave barrier
	s_delay_alu instid0(VALU_DEP_1) | instskip(NEXT) | instid1(VALU_DEP_1)
	v_lshrrev_b32_e32 v26, s64, v21
	v_and_b32_e32 v26, s6, v26
	s_delay_alu instid0(VALU_DEP_1)
	v_and_b32_e32 v27, 1, v26
	v_lshlrev_b32_e32 v28, 30, v26
	v_lshlrev_b32_e32 v30, 29, v26
	;; [unrolled: 1-line block ×4, first 2 shown]
	v_add_co_u32 v27, s0, v27, -1
	s_delay_alu instid0(VALU_DEP_1)
	v_cndmask_b32_e64 v32, 0, 1, s0
	v_not_b32_e32 v38, v28
	v_cmp_gt_i32_e64 s0, 0, v28
	v_not_b32_e32 v28, v30
	v_lshlrev_b32_e32 v35, 26, v26
	v_cmp_ne_u32_e32 vcc_lo, 0, v32
	v_ashrrev_i32_e32 v38, 31, v38
	v_lshlrev_b32_e32 v36, 25, v26
	v_ashrrev_i32_e32 v28, 31, v28
	v_lshlrev_b32_e32 v32, 24, v26
	v_xor_b32_e32 v27, vcc_lo, v27
	v_cmp_gt_i32_e32 vcc_lo, 0, v30
	v_not_b32_e32 v30, v31
	v_xor_b32_e32 v38, s0, v38
	v_cmp_gt_i32_e64 s0, 0, v31
	v_and_b32_e32 v27, exec_lo, v27
	v_not_b32_e32 v31, v34
	v_ashrrev_i32_e32 v30, 31, v30
	v_xor_b32_e32 v28, vcc_lo, v28
	v_cmp_gt_i32_e32 vcc_lo, 0, v34
	v_and_b32_e32 v27, v27, v38
	v_not_b32_e32 v34, v35
	v_ashrrev_i32_e32 v31, 31, v31
	v_xor_b32_e32 v30, s0, v30
	v_cmp_gt_i32_e64 s0, 0, v35
	v_and_b32_e32 v27, v27, v28
	v_not_b32_e32 v28, v36
	v_ashrrev_i32_e32 v34, 31, v34
	v_xor_b32_e32 v31, vcc_lo, v31
	v_cmp_gt_i32_e32 vcc_lo, 0, v36
	v_and_b32_e32 v27, v27, v30
	v_not_b32_e32 v30, v32
	v_ashrrev_i32_e32 v28, 31, v28
	v_xor_b32_e32 v34, s0, v34
	v_lshl_add_u32 v26, v26, 4, v26
	v_and_b32_e32 v27, v27, v31
	v_cmp_gt_i32_e64 s0, 0, v32
	v_ashrrev_i32_e32 v30, 31, v30
	v_xor_b32_e32 v31, vcc_lo, v28
	v_add_lshl_u32 v28, v3, v26, 2
	v_and_b32_e32 v27, v27, v34
	s_delay_alu instid0(VALU_DEP_4) | instskip(SKIP_2) | instid1(VALU_DEP_1)
	v_xor_b32_e32 v30, s0, v30
	ds_load_b32 v26, v28 offset:64
	v_and_b32_e32 v27, v27, v31
	; wave barrier
	v_and_b32_e32 v30, v27, v30
	s_delay_alu instid0(VALU_DEP_1) | instskip(SKIP_1) | instid1(VALU_DEP_2)
	v_mbcnt_lo_u32_b32 v27, v30, 0
	v_cmp_ne_u32_e64 s0, 0, v30
	v_cmp_eq_u32_e32 vcc_lo, 0, v27
	s_delay_alu instid0(VALU_DEP_2) | instskip(NEXT) | instid1(SALU_CYCLE_1)
	s_and_b32 s1, s0, vcc_lo
	s_and_saveexec_b32 s0, s1
	s_cbranch_execz .LBB24_233
; %bb.232:
	s_waitcnt lgkmcnt(0)
	v_bcnt_u32_b32 v30, v30, v26
	ds_store_b32 v28, v30 offset:64
.LBB24_233:
	s_or_b32 exec_lo, exec_lo, s0
	v_xor_b32_e32 v25, 0x80000000, v25
	; wave barrier
	s_delay_alu instid0(VALU_DEP_1) | instskip(NEXT) | instid1(VALU_DEP_1)
	v_lshrrev_b32_e32 v30, s64, v25
	v_and_b32_e32 v30, s6, v30
	s_delay_alu instid0(VALU_DEP_1)
	v_and_b32_e32 v31, 1, v30
	v_lshlrev_b32_e32 v32, 30, v30
	v_lshlrev_b32_e32 v34, 29, v30
	;; [unrolled: 1-line block ×4, first 2 shown]
	v_add_co_u32 v31, s0, v31, -1
	s_delay_alu instid0(VALU_DEP_1)
	v_cndmask_b32_e64 v36, 0, 1, s0
	v_not_b32_e32 v42, v32
	v_cmp_gt_i32_e64 s0, 0, v32
	v_not_b32_e32 v32, v34
	v_lshlrev_b32_e32 v39, 26, v30
	v_cmp_ne_u32_e32 vcc_lo, 0, v36
	v_ashrrev_i32_e32 v42, 31, v42
	v_lshlrev_b32_e32 v40, 25, v30
	v_ashrrev_i32_e32 v32, 31, v32
	v_lshlrev_b32_e32 v36, 24, v30
	v_xor_b32_e32 v31, vcc_lo, v31
	v_cmp_gt_i32_e32 vcc_lo, 0, v34
	v_not_b32_e32 v34, v35
	v_xor_b32_e32 v42, s0, v42
	v_cmp_gt_i32_e64 s0, 0, v35
	v_and_b32_e32 v31, exec_lo, v31
	v_not_b32_e32 v35, v38
	v_ashrrev_i32_e32 v34, 31, v34
	v_xor_b32_e32 v32, vcc_lo, v32
	v_cmp_gt_i32_e32 vcc_lo, 0, v38
	v_and_b32_e32 v31, v31, v42
	v_not_b32_e32 v38, v39
	v_ashrrev_i32_e32 v35, 31, v35
	v_xor_b32_e32 v34, s0, v34
	v_cmp_gt_i32_e64 s0, 0, v39
	v_and_b32_e32 v31, v31, v32
	v_not_b32_e32 v32, v40
	v_ashrrev_i32_e32 v38, 31, v38
	v_xor_b32_e32 v35, vcc_lo, v35
	v_cmp_gt_i32_e32 vcc_lo, 0, v40
	v_and_b32_e32 v31, v31, v34
	v_not_b32_e32 v34, v36
	v_ashrrev_i32_e32 v32, 31, v32
	v_xor_b32_e32 v38, s0, v38
	v_lshl_add_u32 v30, v30, 4, v30
	v_and_b32_e32 v31, v31, v35
	v_cmp_gt_i32_e64 s0, 0, v36
	v_ashrrev_i32_e32 v34, 31, v34
	v_xor_b32_e32 v35, vcc_lo, v32
	v_add_lshl_u32 v32, v3, v30, 2
	v_and_b32_e32 v31, v31, v38
	s_delay_alu instid0(VALU_DEP_4) | instskip(SKIP_2) | instid1(VALU_DEP_1)
	v_xor_b32_e32 v34, s0, v34
	ds_load_b32 v30, v32 offset:64
	v_and_b32_e32 v31, v31, v35
	; wave barrier
	v_and_b32_e32 v34, v31, v34
	s_delay_alu instid0(VALU_DEP_1) | instskip(SKIP_1) | instid1(VALU_DEP_2)
	v_mbcnt_lo_u32_b32 v31, v34, 0
	v_cmp_ne_u32_e64 s0, 0, v34
	v_cmp_eq_u32_e32 vcc_lo, 0, v31
	s_delay_alu instid0(VALU_DEP_2) | instskip(NEXT) | instid1(SALU_CYCLE_1)
	s_and_b32 s1, s0, vcc_lo
	s_and_saveexec_b32 s0, s1
	s_cbranch_execz .LBB24_235
; %bb.234:
	s_waitcnt lgkmcnt(0)
	v_bcnt_u32_b32 v34, v34, v30
	ds_store_b32 v32, v34 offset:64
.LBB24_235:
	s_or_b32 exec_lo, exec_lo, s0
	v_xor_b32_e32 v29, 0x80000000, v29
	; wave barrier
	s_delay_alu instid0(VALU_DEP_1) | instskip(NEXT) | instid1(VALU_DEP_1)
	v_lshrrev_b32_e32 v34, s64, v29
	v_and_b32_e32 v34, s6, v34
	s_delay_alu instid0(VALU_DEP_1)
	v_and_b32_e32 v35, 1, v34
	v_lshlrev_b32_e32 v36, 30, v34
	v_lshlrev_b32_e32 v38, 29, v34
	;; [unrolled: 1-line block ×4, first 2 shown]
	v_add_co_u32 v35, s0, v35, -1
	s_delay_alu instid0(VALU_DEP_1)
	v_cndmask_b32_e64 v40, 0, 1, s0
	v_not_b32_e32 v46, v36
	v_cmp_gt_i32_e64 s0, 0, v36
	v_not_b32_e32 v36, v38
	v_lshlrev_b32_e32 v43, 26, v34
	v_cmp_ne_u32_e32 vcc_lo, 0, v40
	v_ashrrev_i32_e32 v46, 31, v46
	v_lshlrev_b32_e32 v44, 25, v34
	v_ashrrev_i32_e32 v36, 31, v36
	v_lshlrev_b32_e32 v40, 24, v34
	v_xor_b32_e32 v35, vcc_lo, v35
	v_cmp_gt_i32_e32 vcc_lo, 0, v38
	v_not_b32_e32 v38, v39
	v_xor_b32_e32 v46, s0, v46
	v_cmp_gt_i32_e64 s0, 0, v39
	v_and_b32_e32 v35, exec_lo, v35
	v_not_b32_e32 v39, v42
	v_ashrrev_i32_e32 v38, 31, v38
	v_xor_b32_e32 v36, vcc_lo, v36
	v_cmp_gt_i32_e32 vcc_lo, 0, v42
	v_and_b32_e32 v35, v35, v46
	v_not_b32_e32 v42, v43
	v_ashrrev_i32_e32 v39, 31, v39
	v_xor_b32_e32 v38, s0, v38
	v_cmp_gt_i32_e64 s0, 0, v43
	v_and_b32_e32 v35, v35, v36
	v_not_b32_e32 v36, v44
	v_ashrrev_i32_e32 v42, 31, v42
	v_xor_b32_e32 v39, vcc_lo, v39
	v_cmp_gt_i32_e32 vcc_lo, 0, v44
	v_and_b32_e32 v35, v35, v38
	v_not_b32_e32 v38, v40
	v_ashrrev_i32_e32 v36, 31, v36
	v_xor_b32_e32 v42, s0, v42
	v_lshl_add_u32 v34, v34, 4, v34
	v_and_b32_e32 v35, v35, v39
	v_cmp_gt_i32_e64 s0, 0, v40
	v_ashrrev_i32_e32 v38, 31, v38
	v_xor_b32_e32 v39, vcc_lo, v36
	v_add_lshl_u32 v36, v3, v34, 2
	v_and_b32_e32 v35, v35, v42
	s_delay_alu instid0(VALU_DEP_4) | instskip(SKIP_2) | instid1(VALU_DEP_1)
	v_xor_b32_e32 v38, s0, v38
	ds_load_b32 v34, v36 offset:64
	v_and_b32_e32 v35, v35, v39
	; wave barrier
	v_and_b32_e32 v38, v35, v38
	s_delay_alu instid0(VALU_DEP_1) | instskip(SKIP_1) | instid1(VALU_DEP_2)
	v_mbcnt_lo_u32_b32 v35, v38, 0
	v_cmp_ne_u32_e64 s0, 0, v38
	v_cmp_eq_u32_e32 vcc_lo, 0, v35
	s_delay_alu instid0(VALU_DEP_2) | instskip(NEXT) | instid1(SALU_CYCLE_1)
	s_and_b32 s1, s0, vcc_lo
	s_and_saveexec_b32 s0, s1
	s_cbranch_execz .LBB24_237
; %bb.236:
	s_waitcnt lgkmcnt(0)
	v_bcnt_u32_b32 v38, v38, v34
	ds_store_b32 v36, v38 offset:64
.LBB24_237:
	s_or_b32 exec_lo, exec_lo, s0
	v_xor_b32_e32 v33, 0x80000000, v33
	; wave barrier
	s_delay_alu instid0(VALU_DEP_1) | instskip(NEXT) | instid1(VALU_DEP_1)
	v_lshrrev_b32_e32 v38, s64, v33
	v_and_b32_e32 v38, s6, v38
	s_delay_alu instid0(VALU_DEP_1)
	v_and_b32_e32 v39, 1, v38
	v_lshlrev_b32_e32 v40, 30, v38
	v_lshlrev_b32_e32 v42, 29, v38
	;; [unrolled: 1-line block ×4, first 2 shown]
	v_add_co_u32 v39, s0, v39, -1
	s_delay_alu instid0(VALU_DEP_1)
	v_cndmask_b32_e64 v44, 0, 1, s0
	v_not_b32_e32 v51, v40
	v_cmp_gt_i32_e64 s0, 0, v40
	v_not_b32_e32 v40, v42
	v_lshlrev_b32_e32 v47, 26, v38
	v_cmp_ne_u32_e32 vcc_lo, 0, v44
	v_ashrrev_i32_e32 v51, 31, v51
	v_lshlrev_b32_e32 v48, 25, v38
	v_ashrrev_i32_e32 v40, 31, v40
	v_lshlrev_b32_e32 v44, 24, v38
	v_xor_b32_e32 v39, vcc_lo, v39
	v_cmp_gt_i32_e32 vcc_lo, 0, v42
	v_not_b32_e32 v42, v43
	v_xor_b32_e32 v51, s0, v51
	v_cmp_gt_i32_e64 s0, 0, v43
	v_and_b32_e32 v39, exec_lo, v39
	v_not_b32_e32 v43, v46
	v_ashrrev_i32_e32 v42, 31, v42
	v_xor_b32_e32 v40, vcc_lo, v40
	v_cmp_gt_i32_e32 vcc_lo, 0, v46
	v_and_b32_e32 v39, v39, v51
	v_not_b32_e32 v46, v47
	v_ashrrev_i32_e32 v43, 31, v43
	v_xor_b32_e32 v42, s0, v42
	v_cmp_gt_i32_e64 s0, 0, v47
	v_and_b32_e32 v39, v39, v40
	v_not_b32_e32 v40, v48
	v_ashrrev_i32_e32 v46, 31, v46
	v_xor_b32_e32 v43, vcc_lo, v43
	v_cmp_gt_i32_e32 vcc_lo, 0, v48
	v_and_b32_e32 v39, v39, v42
	v_not_b32_e32 v42, v44
	v_ashrrev_i32_e32 v40, 31, v40
	v_xor_b32_e32 v46, s0, v46
	v_lshl_add_u32 v38, v38, 4, v38
	v_and_b32_e32 v39, v39, v43
	v_cmp_gt_i32_e64 s0, 0, v44
	v_ashrrev_i32_e32 v42, 31, v42
	v_xor_b32_e32 v43, vcc_lo, v40
	v_add_lshl_u32 v40, v3, v38, 2
	v_and_b32_e32 v39, v39, v46
	s_delay_alu instid0(VALU_DEP_4) | instskip(SKIP_2) | instid1(VALU_DEP_1)
	v_xor_b32_e32 v42, s0, v42
	ds_load_b32 v38, v40 offset:64
	v_and_b32_e32 v39, v39, v43
	; wave barrier
	v_and_b32_e32 v42, v39, v42
	s_delay_alu instid0(VALU_DEP_1) | instskip(SKIP_1) | instid1(VALU_DEP_2)
	v_mbcnt_lo_u32_b32 v39, v42, 0
	v_cmp_ne_u32_e64 s0, 0, v42
	v_cmp_eq_u32_e32 vcc_lo, 0, v39
	s_delay_alu instid0(VALU_DEP_2) | instskip(NEXT) | instid1(SALU_CYCLE_1)
	s_and_b32 s1, s0, vcc_lo
	s_and_saveexec_b32 s0, s1
	s_cbranch_execz .LBB24_239
; %bb.238:
	s_waitcnt lgkmcnt(0)
	v_bcnt_u32_b32 v42, v42, v38
	ds_store_b32 v40, v42 offset:64
.LBB24_239:
	s_or_b32 exec_lo, exec_lo, s0
	v_xor_b32_e32 v37, 0x80000000, v37
	; wave barrier
	s_delay_alu instid0(VALU_DEP_1) | instskip(NEXT) | instid1(VALU_DEP_1)
	v_lshrrev_b32_e32 v42, s64, v37
	v_and_b32_e32 v42, s6, v42
	s_delay_alu instid0(VALU_DEP_1)
	v_and_b32_e32 v43, 1, v42
	v_lshlrev_b32_e32 v44, 30, v42
	v_lshlrev_b32_e32 v46, 29, v42
	;; [unrolled: 1-line block ×4, first 2 shown]
	v_add_co_u32 v43, s0, v43, -1
	s_delay_alu instid0(VALU_DEP_1)
	v_cndmask_b32_e64 v48, 0, 1, s0
	v_not_b32_e32 v56, v44
	v_cmp_gt_i32_e64 s0, 0, v44
	v_not_b32_e32 v44, v46
	v_lshlrev_b32_e32 v52, 26, v42
	v_cmp_ne_u32_e32 vcc_lo, 0, v48
	v_ashrrev_i32_e32 v56, 31, v56
	v_lshlrev_b32_e32 v53, 25, v42
	v_ashrrev_i32_e32 v44, 31, v44
	v_lshlrev_b32_e32 v48, 24, v42
	v_xor_b32_e32 v43, vcc_lo, v43
	v_cmp_gt_i32_e32 vcc_lo, 0, v46
	v_not_b32_e32 v46, v47
	v_xor_b32_e32 v56, s0, v56
	v_cmp_gt_i32_e64 s0, 0, v47
	v_and_b32_e32 v43, exec_lo, v43
	v_not_b32_e32 v47, v51
	v_ashrrev_i32_e32 v46, 31, v46
	v_xor_b32_e32 v44, vcc_lo, v44
	v_cmp_gt_i32_e32 vcc_lo, 0, v51
	v_and_b32_e32 v43, v43, v56
	v_not_b32_e32 v51, v52
	v_ashrrev_i32_e32 v47, 31, v47
	v_xor_b32_e32 v46, s0, v46
	v_cmp_gt_i32_e64 s0, 0, v52
	v_and_b32_e32 v43, v43, v44
	v_not_b32_e32 v44, v53
	v_ashrrev_i32_e32 v51, 31, v51
	v_xor_b32_e32 v47, vcc_lo, v47
	v_cmp_gt_i32_e32 vcc_lo, 0, v53
	v_and_b32_e32 v43, v43, v46
	v_not_b32_e32 v46, v48
	v_ashrrev_i32_e32 v44, 31, v44
	v_xor_b32_e32 v51, s0, v51
	v_lshl_add_u32 v42, v42, 4, v42
	v_and_b32_e32 v43, v43, v47
	v_cmp_gt_i32_e64 s0, 0, v48
	v_ashrrev_i32_e32 v46, 31, v46
	v_xor_b32_e32 v47, vcc_lo, v44
	v_add_lshl_u32 v44, v3, v42, 2
	v_and_b32_e32 v43, v43, v51
	s_delay_alu instid0(VALU_DEP_4) | instskip(SKIP_2) | instid1(VALU_DEP_1)
	v_xor_b32_e32 v46, s0, v46
	ds_load_b32 v42, v44 offset:64
	v_and_b32_e32 v43, v43, v47
	; wave barrier
	v_and_b32_e32 v46, v43, v46
	s_delay_alu instid0(VALU_DEP_1) | instskip(SKIP_1) | instid1(VALU_DEP_2)
	v_mbcnt_lo_u32_b32 v43, v46, 0
	v_cmp_ne_u32_e64 s0, 0, v46
	v_cmp_eq_u32_e32 vcc_lo, 0, v43
	s_delay_alu instid0(VALU_DEP_2) | instskip(NEXT) | instid1(SALU_CYCLE_1)
	s_and_b32 s1, s0, vcc_lo
	s_and_saveexec_b32 s0, s1
	s_cbranch_execz .LBB24_241
; %bb.240:
	s_waitcnt lgkmcnt(0)
	v_bcnt_u32_b32 v46, v46, v42
	ds_store_b32 v44, v46 offset:64
.LBB24_241:
	s_or_b32 exec_lo, exec_lo, s0
	v_xor_b32_e32 v41, 0x80000000, v41
	; wave barrier
	s_delay_alu instid0(VALU_DEP_1) | instskip(NEXT) | instid1(VALU_DEP_1)
	v_lshrrev_b32_e32 v46, s64, v41
	v_and_b32_e32 v46, s6, v46
	s_delay_alu instid0(VALU_DEP_1)
	v_and_b32_e32 v47, 1, v46
	v_lshlrev_b32_e32 v48, 30, v46
	v_lshlrev_b32_e32 v51, 29, v46
	;; [unrolled: 1-line block ×4, first 2 shown]
	v_add_co_u32 v47, s0, v47, -1
	s_delay_alu instid0(VALU_DEP_1)
	v_cndmask_b32_e64 v53, 0, 1, s0
	v_not_b32_e32 v60, v48
	v_cmp_gt_i32_e64 s0, 0, v48
	v_not_b32_e32 v48, v51
	v_lshlrev_b32_e32 v57, 26, v46
	v_cmp_ne_u32_e32 vcc_lo, 0, v53
	v_ashrrev_i32_e32 v60, 31, v60
	v_lshlrev_b32_e32 v58, 25, v46
	v_ashrrev_i32_e32 v48, 31, v48
	v_lshlrev_b32_e32 v53, 24, v46
	v_xor_b32_e32 v47, vcc_lo, v47
	v_cmp_gt_i32_e32 vcc_lo, 0, v51
	v_not_b32_e32 v51, v52
	v_xor_b32_e32 v60, s0, v60
	v_cmp_gt_i32_e64 s0, 0, v52
	v_and_b32_e32 v47, exec_lo, v47
	v_not_b32_e32 v52, v56
	v_ashrrev_i32_e32 v51, 31, v51
	v_xor_b32_e32 v48, vcc_lo, v48
	v_cmp_gt_i32_e32 vcc_lo, 0, v56
	v_and_b32_e32 v47, v47, v60
	v_not_b32_e32 v56, v57
	v_ashrrev_i32_e32 v52, 31, v52
	v_xor_b32_e32 v51, s0, v51
	v_cmp_gt_i32_e64 s0, 0, v57
	v_and_b32_e32 v47, v47, v48
	v_not_b32_e32 v48, v58
	v_ashrrev_i32_e32 v56, 31, v56
	v_xor_b32_e32 v52, vcc_lo, v52
	v_cmp_gt_i32_e32 vcc_lo, 0, v58
	v_and_b32_e32 v47, v47, v51
	v_not_b32_e32 v51, v53
	v_ashrrev_i32_e32 v48, 31, v48
	v_xor_b32_e32 v56, s0, v56
	v_lshl_add_u32 v46, v46, 4, v46
	v_and_b32_e32 v47, v47, v52
	v_cmp_gt_i32_e64 s0, 0, v53
	v_ashrrev_i32_e32 v51, 31, v51
	v_xor_b32_e32 v52, vcc_lo, v48
	v_add_lshl_u32 v48, v3, v46, 2
	v_and_b32_e32 v47, v47, v56
	s_delay_alu instid0(VALU_DEP_4) | instskip(SKIP_2) | instid1(VALU_DEP_1)
	v_xor_b32_e32 v51, s0, v51
	ds_load_b32 v46, v48 offset:64
	v_and_b32_e32 v47, v47, v52
	; wave barrier
	v_and_b32_e32 v51, v47, v51
	s_delay_alu instid0(VALU_DEP_1) | instskip(SKIP_1) | instid1(VALU_DEP_2)
	v_mbcnt_lo_u32_b32 v47, v51, 0
	v_cmp_ne_u32_e64 s0, 0, v51
	v_cmp_eq_u32_e32 vcc_lo, 0, v47
	s_delay_alu instid0(VALU_DEP_2) | instskip(NEXT) | instid1(SALU_CYCLE_1)
	s_and_b32 s1, s0, vcc_lo
	s_and_saveexec_b32 s0, s1
	s_cbranch_execz .LBB24_243
; %bb.242:
	s_waitcnt lgkmcnt(0)
	v_bcnt_u32_b32 v51, v51, v46
	ds_store_b32 v48, v51 offset:64
.LBB24_243:
	s_or_b32 exec_lo, exec_lo, s0
	v_xor_b32_e32 v45, 0x80000000, v45
	; wave barrier
	s_delay_alu instid0(VALU_DEP_1) | instskip(NEXT) | instid1(VALU_DEP_1)
	v_lshrrev_b32_e32 v51, s64, v45
	v_and_b32_e32 v51, s6, v51
	s_delay_alu instid0(VALU_DEP_1)
	v_and_b32_e32 v52, 1, v51
	v_lshlrev_b32_e32 v53, 30, v51
	v_lshlrev_b32_e32 v56, 29, v51
	;; [unrolled: 1-line block ×4, first 2 shown]
	v_add_co_u32 v52, s0, v52, -1
	s_delay_alu instid0(VALU_DEP_1)
	v_cndmask_b32_e64 v58, 0, 1, s0
	v_not_b32_e32 v63, v53
	v_cmp_gt_i32_e64 s0, 0, v53
	v_not_b32_e32 v53, v56
	v_lshlrev_b32_e32 v61, 26, v51
	v_cmp_ne_u32_e32 vcc_lo, 0, v58
	v_ashrrev_i32_e32 v63, 31, v63
	v_lshlrev_b32_e32 v62, 25, v51
	v_ashrrev_i32_e32 v53, 31, v53
	v_lshlrev_b32_e32 v58, 24, v51
	v_xor_b32_e32 v52, vcc_lo, v52
	v_cmp_gt_i32_e32 vcc_lo, 0, v56
	v_not_b32_e32 v56, v57
	v_xor_b32_e32 v63, s0, v63
	v_cmp_gt_i32_e64 s0, 0, v57
	v_and_b32_e32 v52, exec_lo, v52
	v_not_b32_e32 v57, v60
	v_ashrrev_i32_e32 v56, 31, v56
	v_xor_b32_e32 v53, vcc_lo, v53
	v_cmp_gt_i32_e32 vcc_lo, 0, v60
	v_and_b32_e32 v52, v52, v63
	v_not_b32_e32 v60, v61
	v_ashrrev_i32_e32 v57, 31, v57
	v_xor_b32_e32 v56, s0, v56
	v_cmp_gt_i32_e64 s0, 0, v61
	v_and_b32_e32 v52, v52, v53
	v_not_b32_e32 v53, v62
	v_ashrrev_i32_e32 v60, 31, v60
	v_xor_b32_e32 v57, vcc_lo, v57
	v_cmp_gt_i32_e32 vcc_lo, 0, v62
	v_and_b32_e32 v52, v52, v56
	v_not_b32_e32 v56, v58
	v_ashrrev_i32_e32 v53, 31, v53
	v_xor_b32_e32 v60, s0, v60
	v_lshl_add_u32 v51, v51, 4, v51
	v_and_b32_e32 v52, v52, v57
	v_cmp_gt_i32_e64 s0, 0, v58
	v_ashrrev_i32_e32 v56, 31, v56
	v_xor_b32_e32 v57, vcc_lo, v53
	v_add_lshl_u32 v53, v3, v51, 2
	v_and_b32_e32 v52, v52, v60
	s_delay_alu instid0(VALU_DEP_4) | instskip(SKIP_2) | instid1(VALU_DEP_1)
	v_xor_b32_e32 v56, s0, v56
	ds_load_b32 v51, v53 offset:64
	v_and_b32_e32 v52, v52, v57
	; wave barrier
	v_and_b32_e32 v56, v52, v56
	s_delay_alu instid0(VALU_DEP_1) | instskip(SKIP_1) | instid1(VALU_DEP_2)
	v_mbcnt_lo_u32_b32 v52, v56, 0
	v_cmp_ne_u32_e64 s0, 0, v56
	v_cmp_eq_u32_e32 vcc_lo, 0, v52
	s_delay_alu instid0(VALU_DEP_2) | instskip(NEXT) | instid1(SALU_CYCLE_1)
	s_and_b32 s1, s0, vcc_lo
	s_and_saveexec_b32 s0, s1
	s_cbranch_execz .LBB24_245
; %bb.244:
	s_waitcnt lgkmcnt(0)
	v_bcnt_u32_b32 v56, v56, v51
	ds_store_b32 v53, v56 offset:64
.LBB24_245:
	s_or_b32 exec_lo, exec_lo, s0
	v_xor_b32_e32 v50, 0x80000000, v50
	; wave barrier
	s_delay_alu instid0(VALU_DEP_1) | instskip(NEXT) | instid1(VALU_DEP_1)
	v_lshrrev_b32_e32 v56, s64, v50
	v_and_b32_e32 v56, s6, v56
	s_delay_alu instid0(VALU_DEP_1)
	v_and_b32_e32 v57, 1, v56
	v_lshlrev_b32_e32 v58, 30, v56
	v_lshlrev_b32_e32 v60, 29, v56
	;; [unrolled: 1-line block ×4, first 2 shown]
	v_add_co_u32 v57, s0, v57, -1
	s_delay_alu instid0(VALU_DEP_1)
	v_cndmask_b32_e64 v62, 0, 1, s0
	v_not_b32_e32 v66, v58
	v_cmp_gt_i32_e64 s0, 0, v58
	v_not_b32_e32 v58, v60
	v_lshlrev_b32_e32 v64, 26, v56
	v_cmp_ne_u32_e32 vcc_lo, 0, v62
	v_ashrrev_i32_e32 v66, 31, v66
	v_lshlrev_b32_e32 v65, 25, v56
	v_ashrrev_i32_e32 v58, 31, v58
	v_lshlrev_b32_e32 v62, 24, v56
	v_xor_b32_e32 v57, vcc_lo, v57
	v_cmp_gt_i32_e32 vcc_lo, 0, v60
	v_not_b32_e32 v60, v61
	v_xor_b32_e32 v66, s0, v66
	v_cmp_gt_i32_e64 s0, 0, v61
	v_and_b32_e32 v57, exec_lo, v57
	v_not_b32_e32 v61, v63
	v_ashrrev_i32_e32 v60, 31, v60
	v_xor_b32_e32 v58, vcc_lo, v58
	v_cmp_gt_i32_e32 vcc_lo, 0, v63
	v_and_b32_e32 v57, v57, v66
	v_not_b32_e32 v63, v64
	v_ashrrev_i32_e32 v61, 31, v61
	v_xor_b32_e32 v60, s0, v60
	v_cmp_gt_i32_e64 s0, 0, v64
	v_and_b32_e32 v57, v57, v58
	v_not_b32_e32 v58, v65
	v_ashrrev_i32_e32 v63, 31, v63
	v_xor_b32_e32 v61, vcc_lo, v61
	v_cmp_gt_i32_e32 vcc_lo, 0, v65
	v_and_b32_e32 v57, v57, v60
	v_not_b32_e32 v60, v62
	v_ashrrev_i32_e32 v58, 31, v58
	v_xor_b32_e32 v63, s0, v63
	v_lshl_add_u32 v56, v56, 4, v56
	v_and_b32_e32 v57, v57, v61
	v_cmp_gt_i32_e64 s0, 0, v62
	v_ashrrev_i32_e32 v60, 31, v60
	v_xor_b32_e32 v61, vcc_lo, v58
	v_add_lshl_u32 v58, v3, v56, 2
	v_and_b32_e32 v57, v57, v63
	s_delay_alu instid0(VALU_DEP_4) | instskip(SKIP_2) | instid1(VALU_DEP_1)
	v_xor_b32_e32 v60, s0, v60
	ds_load_b32 v56, v58 offset:64
	v_and_b32_e32 v57, v57, v61
	; wave barrier
	v_and_b32_e32 v60, v57, v60
	s_delay_alu instid0(VALU_DEP_1) | instskip(SKIP_1) | instid1(VALU_DEP_2)
	v_mbcnt_lo_u32_b32 v57, v60, 0
	v_cmp_ne_u32_e64 s0, 0, v60
	v_cmp_eq_u32_e32 vcc_lo, 0, v57
	s_delay_alu instid0(VALU_DEP_2) | instskip(NEXT) | instid1(SALU_CYCLE_1)
	s_and_b32 s1, s0, vcc_lo
	s_and_saveexec_b32 s0, s1
	s_cbranch_execz .LBB24_247
; %bb.246:
	s_waitcnt lgkmcnt(0)
	v_bcnt_u32_b32 v60, v60, v56
	ds_store_b32 v58, v60 offset:64
.LBB24_247:
	s_or_b32 exec_lo, exec_lo, s0
	v_xor_b32_e32 v55, 0x80000000, v55
	; wave barrier
	s_delay_alu instid0(VALU_DEP_1) | instskip(NEXT) | instid1(VALU_DEP_1)
	v_lshrrev_b32_e32 v60, s64, v55
	v_and_b32_e32 v60, s6, v60
	s_delay_alu instid0(VALU_DEP_1)
	v_and_b32_e32 v61, 1, v60
	v_lshlrev_b32_e32 v62, 30, v60
	v_lshlrev_b32_e32 v63, 29, v60
	;; [unrolled: 1-line block ×4, first 2 shown]
	v_add_co_u32 v61, s0, v61, -1
	s_delay_alu instid0(VALU_DEP_1)
	v_cndmask_b32_e64 v65, 0, 1, s0
	v_not_b32_e32 v69, v62
	v_cmp_gt_i32_e64 s0, 0, v62
	v_not_b32_e32 v62, v63
	v_lshlrev_b32_e32 v67, 26, v60
	v_cmp_ne_u32_e32 vcc_lo, 0, v65
	v_ashrrev_i32_e32 v69, 31, v69
	v_lshlrev_b32_e32 v68, 25, v60
	v_ashrrev_i32_e32 v62, 31, v62
	v_lshlrev_b32_e32 v65, 24, v60
	v_xor_b32_e32 v61, vcc_lo, v61
	v_cmp_gt_i32_e32 vcc_lo, 0, v63
	v_not_b32_e32 v63, v64
	v_xor_b32_e32 v69, s0, v69
	v_cmp_gt_i32_e64 s0, 0, v64
	v_and_b32_e32 v61, exec_lo, v61
	v_not_b32_e32 v64, v66
	v_ashrrev_i32_e32 v63, 31, v63
	v_xor_b32_e32 v62, vcc_lo, v62
	v_cmp_gt_i32_e32 vcc_lo, 0, v66
	v_and_b32_e32 v61, v61, v69
	v_not_b32_e32 v66, v67
	v_ashrrev_i32_e32 v64, 31, v64
	v_xor_b32_e32 v63, s0, v63
	v_cmp_gt_i32_e64 s0, 0, v67
	v_and_b32_e32 v61, v61, v62
	v_not_b32_e32 v62, v68
	v_ashrrev_i32_e32 v66, 31, v66
	v_xor_b32_e32 v64, vcc_lo, v64
	v_cmp_gt_i32_e32 vcc_lo, 0, v68
	v_and_b32_e32 v61, v61, v63
	v_not_b32_e32 v63, v65
	v_ashrrev_i32_e32 v62, 31, v62
	v_xor_b32_e32 v66, s0, v66
	v_lshl_add_u32 v60, v60, 4, v60
	v_and_b32_e32 v61, v61, v64
	v_cmp_gt_i32_e64 s0, 0, v65
	v_ashrrev_i32_e32 v63, 31, v63
	v_xor_b32_e32 v64, vcc_lo, v62
	v_add_lshl_u32 v62, v3, v60, 2
	v_and_b32_e32 v61, v61, v66
	s_delay_alu instid0(VALU_DEP_4) | instskip(SKIP_2) | instid1(VALU_DEP_1)
	v_xor_b32_e32 v63, s0, v63
	ds_load_b32 v60, v62 offset:64
	v_and_b32_e32 v61, v61, v64
	; wave barrier
	v_and_b32_e32 v63, v61, v63
	s_delay_alu instid0(VALU_DEP_1) | instskip(SKIP_1) | instid1(VALU_DEP_2)
	v_mbcnt_lo_u32_b32 v61, v63, 0
	v_cmp_ne_u32_e64 s0, 0, v63
	v_cmp_eq_u32_e32 vcc_lo, 0, v61
	s_delay_alu instid0(VALU_DEP_2) | instskip(NEXT) | instid1(SALU_CYCLE_1)
	s_and_b32 s1, s0, vcc_lo
	s_and_saveexec_b32 s0, s1
	s_cbranch_execz .LBB24_249
; %bb.248:
	s_waitcnt lgkmcnt(0)
	v_bcnt_u32_b32 v63, v63, v60
	ds_store_b32 v62, v63 offset:64
.LBB24_249:
	s_or_b32 exec_lo, exec_lo, s0
	v_xor_b32_e32 v59, 0x80000000, v59
	; wave barrier
	s_delay_alu instid0(VALU_DEP_1) | instskip(NEXT) | instid1(VALU_DEP_1)
	v_lshrrev_b32_e32 v63, s64, v59
	v_and_b32_e32 v63, s6, v63
	s_delay_alu instid0(VALU_DEP_1)
	v_and_b32_e32 v64, 1, v63
	v_lshlrev_b32_e32 v65, 30, v63
	v_lshlrev_b32_e32 v66, 29, v63
	;; [unrolled: 1-line block ×4, first 2 shown]
	v_add_co_u32 v64, s0, v64, -1
	s_delay_alu instid0(VALU_DEP_1)
	v_cndmask_b32_e64 v68, 0, 1, s0
	v_not_b32_e32 v72, v65
	v_cmp_gt_i32_e64 s0, 0, v65
	v_not_b32_e32 v65, v66
	v_lshlrev_b32_e32 v70, 26, v63
	v_cmp_ne_u32_e32 vcc_lo, 0, v68
	v_ashrrev_i32_e32 v72, 31, v72
	v_lshlrev_b32_e32 v71, 25, v63
	v_ashrrev_i32_e32 v65, 31, v65
	v_lshlrev_b32_e32 v68, 24, v63
	v_xor_b32_e32 v64, vcc_lo, v64
	v_cmp_gt_i32_e32 vcc_lo, 0, v66
	v_not_b32_e32 v66, v67
	v_xor_b32_e32 v72, s0, v72
	v_cmp_gt_i32_e64 s0, 0, v67
	v_and_b32_e32 v64, exec_lo, v64
	v_not_b32_e32 v67, v69
	v_ashrrev_i32_e32 v66, 31, v66
	v_xor_b32_e32 v65, vcc_lo, v65
	v_cmp_gt_i32_e32 vcc_lo, 0, v69
	v_and_b32_e32 v64, v64, v72
	v_not_b32_e32 v69, v70
	v_ashrrev_i32_e32 v67, 31, v67
	v_xor_b32_e32 v66, s0, v66
	v_cmp_gt_i32_e64 s0, 0, v70
	v_and_b32_e32 v64, v64, v65
	v_not_b32_e32 v65, v71
	v_ashrrev_i32_e32 v69, 31, v69
	v_xor_b32_e32 v67, vcc_lo, v67
	v_cmp_gt_i32_e32 vcc_lo, 0, v71
	v_and_b32_e32 v64, v64, v66
	v_not_b32_e32 v66, v68
	v_ashrrev_i32_e32 v65, 31, v65
	v_xor_b32_e32 v69, s0, v69
	v_lshl_add_u32 v63, v63, 4, v63
	v_and_b32_e32 v64, v64, v67
	v_cmp_gt_i32_e64 s0, 0, v68
	v_ashrrev_i32_e32 v66, 31, v66
	v_xor_b32_e32 v67, vcc_lo, v65
	v_add_lshl_u32 v65, v3, v63, 2
	v_and_b32_e32 v64, v64, v69
	s_delay_alu instid0(VALU_DEP_4) | instskip(SKIP_2) | instid1(VALU_DEP_1)
	v_xor_b32_e32 v66, s0, v66
	ds_load_b32 v63, v65 offset:64
	v_and_b32_e32 v64, v64, v67
	; wave barrier
	v_and_b32_e32 v66, v64, v66
	s_delay_alu instid0(VALU_DEP_1) | instskip(SKIP_1) | instid1(VALU_DEP_2)
	v_mbcnt_lo_u32_b32 v64, v66, 0
	v_cmp_ne_u32_e64 s0, 0, v66
	v_cmp_eq_u32_e32 vcc_lo, 0, v64
	s_delay_alu instid0(VALU_DEP_2) | instskip(NEXT) | instid1(SALU_CYCLE_1)
	s_and_b32 s1, s0, vcc_lo
	s_and_saveexec_b32 s0, s1
	s_cbranch_execz .LBB24_251
; %bb.250:
	s_waitcnt lgkmcnt(0)
	v_bcnt_u32_b32 v66, v66, v63
	ds_store_b32 v65, v66 offset:64
.LBB24_251:
	s_or_b32 exec_lo, exec_lo, s0
	v_xor_b32_e32 v54, 0x80000000, v54
	; wave barrier
	s_delay_alu instid0(VALU_DEP_1) | instskip(NEXT) | instid1(VALU_DEP_1)
	v_lshrrev_b32_e32 v66, s64, v54
	v_and_b32_e32 v66, s6, v66
	s_delay_alu instid0(VALU_DEP_1)
	v_and_b32_e32 v67, 1, v66
	v_lshlrev_b32_e32 v68, 30, v66
	v_lshlrev_b32_e32 v69, 29, v66
	;; [unrolled: 1-line block ×4, first 2 shown]
	v_add_co_u32 v67, s0, v67, -1
	s_delay_alu instid0(VALU_DEP_1)
	v_cndmask_b32_e64 v71, 0, 1, s0
	v_not_b32_e32 v75, v68
	v_cmp_gt_i32_e64 s0, 0, v68
	v_not_b32_e32 v68, v69
	v_lshlrev_b32_e32 v73, 26, v66
	v_cmp_ne_u32_e32 vcc_lo, 0, v71
	v_ashrrev_i32_e32 v75, 31, v75
	v_lshlrev_b32_e32 v74, 25, v66
	v_ashrrev_i32_e32 v68, 31, v68
	v_lshlrev_b32_e32 v71, 24, v66
	v_xor_b32_e32 v67, vcc_lo, v67
	v_cmp_gt_i32_e32 vcc_lo, 0, v69
	v_not_b32_e32 v69, v70
	v_xor_b32_e32 v75, s0, v75
	v_cmp_gt_i32_e64 s0, 0, v70
	v_and_b32_e32 v67, exec_lo, v67
	v_not_b32_e32 v70, v72
	v_ashrrev_i32_e32 v69, 31, v69
	v_xor_b32_e32 v68, vcc_lo, v68
	v_cmp_gt_i32_e32 vcc_lo, 0, v72
	v_and_b32_e32 v67, v67, v75
	v_not_b32_e32 v72, v73
	v_ashrrev_i32_e32 v70, 31, v70
	v_xor_b32_e32 v69, s0, v69
	v_cmp_gt_i32_e64 s0, 0, v73
	v_and_b32_e32 v67, v67, v68
	v_not_b32_e32 v68, v74
	v_ashrrev_i32_e32 v72, 31, v72
	v_xor_b32_e32 v70, vcc_lo, v70
	v_cmp_gt_i32_e32 vcc_lo, 0, v74
	v_and_b32_e32 v67, v67, v69
	v_not_b32_e32 v69, v71
	v_ashrrev_i32_e32 v68, 31, v68
	v_xor_b32_e32 v72, s0, v72
	v_lshl_add_u32 v66, v66, 4, v66
	v_and_b32_e32 v67, v67, v70
	v_cmp_gt_i32_e64 s0, 0, v71
	v_ashrrev_i32_e32 v69, 31, v69
	v_xor_b32_e32 v70, vcc_lo, v68
	v_add_lshl_u32 v68, v3, v66, 2
	v_and_b32_e32 v67, v67, v72
	s_delay_alu instid0(VALU_DEP_4) | instskip(SKIP_2) | instid1(VALU_DEP_1)
	v_xor_b32_e32 v69, s0, v69
	ds_load_b32 v66, v68 offset:64
	v_and_b32_e32 v67, v67, v70
	; wave barrier
	v_and_b32_e32 v69, v67, v69
	s_delay_alu instid0(VALU_DEP_1) | instskip(SKIP_1) | instid1(VALU_DEP_2)
	v_mbcnt_lo_u32_b32 v67, v69, 0
	v_cmp_ne_u32_e64 s0, 0, v69
	v_cmp_eq_u32_e32 vcc_lo, 0, v67
	s_delay_alu instid0(VALU_DEP_2) | instskip(NEXT) | instid1(SALU_CYCLE_1)
	s_and_b32 s1, s0, vcc_lo
	s_and_saveexec_b32 s0, s1
	s_cbranch_execz .LBB24_253
; %bb.252:
	s_waitcnt lgkmcnt(0)
	v_bcnt_u32_b32 v69, v69, v66
	ds_store_b32 v68, v69 offset:64
.LBB24_253:
	s_or_b32 exec_lo, exec_lo, s0
	v_xor_b32_e32 v49, 0x80000000, v49
	; wave barrier
	s_delay_alu instid0(VALU_DEP_1) | instskip(NEXT) | instid1(VALU_DEP_1)
	v_lshrrev_b32_e32 v69, s64, v49
	v_and_b32_e32 v69, s6, v69
	s_delay_alu instid0(VALU_DEP_1)
	v_and_b32_e32 v70, 1, v69
	v_lshlrev_b32_e32 v71, 30, v69
	v_lshlrev_b32_e32 v72, 29, v69
	;; [unrolled: 1-line block ×4, first 2 shown]
	v_add_co_u32 v70, s0, v70, -1
	s_delay_alu instid0(VALU_DEP_1)
	v_cndmask_b32_e64 v74, 0, 1, s0
	v_not_b32_e32 v78, v71
	v_cmp_gt_i32_e64 s0, 0, v71
	v_not_b32_e32 v71, v72
	v_lshlrev_b32_e32 v76, 26, v69
	v_cmp_ne_u32_e32 vcc_lo, 0, v74
	v_ashrrev_i32_e32 v78, 31, v78
	v_lshlrev_b32_e32 v77, 25, v69
	v_ashrrev_i32_e32 v71, 31, v71
	v_lshlrev_b32_e32 v74, 24, v69
	v_xor_b32_e32 v70, vcc_lo, v70
	v_cmp_gt_i32_e32 vcc_lo, 0, v72
	v_not_b32_e32 v72, v73
	v_xor_b32_e32 v78, s0, v78
	v_cmp_gt_i32_e64 s0, 0, v73
	v_and_b32_e32 v70, exec_lo, v70
	v_not_b32_e32 v73, v75
	v_ashrrev_i32_e32 v72, 31, v72
	v_xor_b32_e32 v71, vcc_lo, v71
	v_cmp_gt_i32_e32 vcc_lo, 0, v75
	v_and_b32_e32 v70, v70, v78
	v_not_b32_e32 v75, v76
	v_ashrrev_i32_e32 v73, 31, v73
	v_xor_b32_e32 v72, s0, v72
	v_cmp_gt_i32_e64 s0, 0, v76
	v_and_b32_e32 v70, v70, v71
	v_not_b32_e32 v71, v77
	v_ashrrev_i32_e32 v75, 31, v75
	v_xor_b32_e32 v73, vcc_lo, v73
	v_cmp_gt_i32_e32 vcc_lo, 0, v77
	v_and_b32_e32 v70, v70, v72
	v_not_b32_e32 v72, v74
	v_ashrrev_i32_e32 v71, 31, v71
	v_xor_b32_e32 v75, s0, v75
	v_lshl_add_u32 v69, v69, 4, v69
	v_and_b32_e32 v70, v70, v73
	v_cmp_gt_i32_e64 s0, 0, v74
	v_ashrrev_i32_e32 v73, 31, v72
	v_xor_b32_e32 v71, vcc_lo, v71
	v_add_lshl_u32 v72, v3, v69, 2
	v_and_b32_e32 v70, v70, v75
	s_delay_alu instid0(VALU_DEP_4) | instskip(NEXT) | instid1(VALU_DEP_2)
	v_xor_b32_e32 v69, s0, v73
	v_and_b32_e32 v71, v70, v71
	ds_load_b32 v70, v72 offset:64
	; wave barrier
	v_and_b32_e32 v69, v71, v69
	s_delay_alu instid0(VALU_DEP_1) | instskip(SKIP_1) | instid1(VALU_DEP_2)
	v_mbcnt_lo_u32_b32 v71, v69, 0
	v_cmp_ne_u32_e64 s0, 0, v69
	v_cmp_eq_u32_e32 vcc_lo, 0, v71
	s_delay_alu instid0(VALU_DEP_2) | instskip(NEXT) | instid1(SALU_CYCLE_1)
	s_and_b32 s1, s0, vcc_lo
	s_and_saveexec_b32 s0, s1
	s_cbranch_execz .LBB24_255
; %bb.254:
	s_waitcnt lgkmcnt(0)
	v_bcnt_u32_b32 v69, v69, v70
	ds_store_b32 v72, v69 offset:64
.LBB24_255:
	s_or_b32 exec_lo, exec_lo, s0
	v_xor_b32_e32 v69, 0x80000000, v9
	; wave barrier
	s_delay_alu instid0(VALU_DEP_1) | instskip(NEXT) | instid1(VALU_DEP_1)
	v_lshrrev_b32_e32 v9, s64, v69
	v_and_b32_e32 v9, s6, v9
	s_delay_alu instid0(VALU_DEP_1)
	v_and_b32_e32 v73, 1, v9
	v_lshlrev_b32_e32 v74, 30, v9
	v_lshlrev_b32_e32 v75, 29, v9
	;; [unrolled: 1-line block ×4, first 2 shown]
	v_add_co_u32 v73, s0, v73, -1
	s_delay_alu instid0(VALU_DEP_1)
	v_cndmask_b32_e64 v77, 0, 1, s0
	v_not_b32_e32 v81, v74
	v_cmp_gt_i32_e64 s0, 0, v74
	v_not_b32_e32 v74, v75
	v_lshlrev_b32_e32 v79, 26, v9
	v_cmp_ne_u32_e32 vcc_lo, 0, v77
	v_ashrrev_i32_e32 v81, 31, v81
	v_lshlrev_b32_e32 v80, 25, v9
	v_ashrrev_i32_e32 v74, 31, v74
	v_lshlrev_b32_e32 v77, 24, v9
	v_xor_b32_e32 v73, vcc_lo, v73
	v_cmp_gt_i32_e32 vcc_lo, 0, v75
	v_not_b32_e32 v75, v76
	v_xor_b32_e32 v81, s0, v81
	v_cmp_gt_i32_e64 s0, 0, v76
	v_and_b32_e32 v73, exec_lo, v73
	v_not_b32_e32 v76, v78
	v_ashrrev_i32_e32 v75, 31, v75
	v_xor_b32_e32 v74, vcc_lo, v74
	v_cmp_gt_i32_e32 vcc_lo, 0, v78
	v_and_b32_e32 v73, v73, v81
	v_not_b32_e32 v78, v79
	v_ashrrev_i32_e32 v76, 31, v76
	v_xor_b32_e32 v75, s0, v75
	v_cmp_gt_i32_e64 s0, 0, v79
	v_and_b32_e32 v73, v73, v74
	v_not_b32_e32 v74, v80
	v_ashrrev_i32_e32 v78, 31, v78
	v_xor_b32_e32 v76, vcc_lo, v76
	v_cmp_gt_i32_e32 vcc_lo, 0, v80
	v_and_b32_e32 v73, v73, v75
	v_not_b32_e32 v75, v77
	v_ashrrev_i32_e32 v74, 31, v74
	v_xor_b32_e32 v78, s0, v78
	v_lshl_add_u32 v9, v9, 4, v9
	v_and_b32_e32 v73, v73, v76
	v_cmp_gt_i32_e64 s0, 0, v77
	v_ashrrev_i32_e32 v75, 31, v75
	v_xor_b32_e32 v74, vcc_lo, v74
	v_add_lshl_u32 v77, v3, v9, 2
	v_and_b32_e32 v73, v73, v78
	s_delay_alu instid0(VALU_DEP_4) | instskip(NEXT) | instid1(VALU_DEP_2)
	v_xor_b32_e32 v9, s0, v75
	v_and_b32_e32 v73, v73, v74
	ds_load_b32 v74, v77 offset:64
	; wave barrier
	v_and_b32_e32 v9, v73, v9
	s_delay_alu instid0(VALU_DEP_1) | instskip(SKIP_1) | instid1(VALU_DEP_2)
	v_mbcnt_lo_u32_b32 v75, v9, 0
	v_cmp_ne_u32_e64 s0, 0, v9
	v_cmp_eq_u32_e32 vcc_lo, 0, v75
	s_delay_alu instid0(VALU_DEP_2) | instskip(NEXT) | instid1(SALU_CYCLE_1)
	s_and_b32 s1, s0, vcc_lo
	s_and_saveexec_b32 s0, s1
	s_cbranch_execz .LBB24_257
; %bb.256:
	s_waitcnt lgkmcnt(0)
	v_bcnt_u32_b32 v9, v9, v74
	ds_store_b32 v77, v9 offset:64
.LBB24_257:
	s_or_b32 exec_lo, exec_lo, s0
	v_xor_b32_e32 v73, 0x80000000, v8
	; wave barrier
	s_delay_alu instid0(VALU_DEP_1) | instskip(NEXT) | instid1(VALU_DEP_1)
	v_lshrrev_b32_e32 v8, s64, v73
	v_and_b32_e32 v8, s6, v8
	s_delay_alu instid0(VALU_DEP_1)
	v_and_b32_e32 v9, 1, v8
	v_lshlrev_b32_e32 v76, 30, v8
	v_lshlrev_b32_e32 v78, 29, v8
	;; [unrolled: 1-line block ×4, first 2 shown]
	v_add_co_u32 v9, s0, v9, -1
	s_delay_alu instid0(VALU_DEP_1)
	v_cndmask_b32_e64 v80, 0, 1, s0
	v_not_b32_e32 v84, v76
	v_cmp_gt_i32_e64 s0, 0, v76
	v_not_b32_e32 v76, v78
	v_lshlrev_b32_e32 v82, 26, v8
	v_cmp_ne_u32_e32 vcc_lo, 0, v80
	v_ashrrev_i32_e32 v84, 31, v84
	v_lshlrev_b32_e32 v83, 25, v8
	v_ashrrev_i32_e32 v76, 31, v76
	v_lshlrev_b32_e32 v80, 24, v8
	v_xor_b32_e32 v9, vcc_lo, v9
	v_cmp_gt_i32_e32 vcc_lo, 0, v78
	v_not_b32_e32 v78, v79
	v_xor_b32_e32 v84, s0, v84
	v_cmp_gt_i32_e64 s0, 0, v79
	v_and_b32_e32 v9, exec_lo, v9
	v_not_b32_e32 v79, v81
	v_ashrrev_i32_e32 v78, 31, v78
	v_xor_b32_e32 v76, vcc_lo, v76
	v_cmp_gt_i32_e32 vcc_lo, 0, v81
	v_and_b32_e32 v9, v9, v84
	v_not_b32_e32 v81, v82
	v_ashrrev_i32_e32 v79, 31, v79
	v_xor_b32_e32 v78, s0, v78
	v_cmp_gt_i32_e64 s0, 0, v82
	v_and_b32_e32 v9, v9, v76
	v_not_b32_e32 v76, v83
	v_ashrrev_i32_e32 v81, 31, v81
	v_xor_b32_e32 v79, vcc_lo, v79
	v_cmp_gt_i32_e32 vcc_lo, 0, v83
	v_and_b32_e32 v9, v9, v78
	v_not_b32_e32 v78, v80
	v_ashrrev_i32_e32 v76, 31, v76
	v_xor_b32_e32 v81, s0, v81
	v_lshl_add_u32 v8, v8, 4, v8
	v_and_b32_e32 v9, v9, v79
	v_cmp_gt_i32_e64 s0, 0, v80
	v_ashrrev_i32_e32 v78, 31, v78
	v_xor_b32_e32 v76, vcc_lo, v76
	s_delay_alu instid0(VALU_DEP_4) | instskip(SKIP_1) | instid1(VALU_DEP_4)
	v_and_b32_e32 v9, v9, v81
	v_add_lshl_u32 v81, v3, v8, 2
	v_xor_b32_e32 v8, s0, v78
	s_delay_alu instid0(VALU_DEP_3) | instskip(SKIP_2) | instid1(VALU_DEP_1)
	v_and_b32_e32 v9, v9, v76
	ds_load_b32 v79, v81 offset:64
	; wave barrier
	v_and_b32_e32 v8, v9, v8
	v_mbcnt_lo_u32_b32 v80, v8, 0
	v_cmp_ne_u32_e64 s0, 0, v8
	s_delay_alu instid0(VALU_DEP_2) | instskip(NEXT) | instid1(VALU_DEP_2)
	v_cmp_eq_u32_e32 vcc_lo, 0, v80
	s_and_b32 s1, s0, vcc_lo
	s_delay_alu instid0(SALU_CYCLE_1)
	s_and_saveexec_b32 s0, s1
	s_cbranch_execz .LBB24_259
; %bb.258:
	s_waitcnt lgkmcnt(0)
	v_bcnt_u32_b32 v8, v8, v79
	ds_store_b32 v81, v8 offset:64
.LBB24_259:
	s_or_b32 exec_lo, exec_lo, s0
	v_xor_b32_e32 v78, 0x80000000, v7
	; wave barrier
	s_delay_alu instid0(VALU_DEP_1) | instskip(NEXT) | instid1(VALU_DEP_1)
	v_lshrrev_b32_e32 v7, s64, v78
	v_and_b32_e32 v7, s6, v7
	s_delay_alu instid0(VALU_DEP_1)
	v_and_b32_e32 v8, 1, v7
	v_lshlrev_b32_e32 v9, 30, v7
	v_lshlrev_b32_e32 v76, 29, v7
	;; [unrolled: 1-line block ×4, first 2 shown]
	v_add_co_u32 v8, s0, v8, -1
	s_delay_alu instid0(VALU_DEP_1)
	v_cndmask_b32_e64 v83, 0, 1, s0
	v_not_b32_e32 v87, v9
	v_cmp_gt_i32_e64 s0, 0, v9
	v_not_b32_e32 v9, v76
	v_lshlrev_b32_e32 v85, 26, v7
	v_cmp_ne_u32_e32 vcc_lo, 0, v83
	v_ashrrev_i32_e32 v87, 31, v87
	v_lshlrev_b32_e32 v86, 25, v7
	v_ashrrev_i32_e32 v9, 31, v9
	v_lshlrev_b32_e32 v83, 24, v7
	v_xor_b32_e32 v8, vcc_lo, v8
	v_cmp_gt_i32_e32 vcc_lo, 0, v76
	v_not_b32_e32 v76, v82
	v_xor_b32_e32 v87, s0, v87
	v_cmp_gt_i32_e64 s0, 0, v82
	v_and_b32_e32 v8, exec_lo, v8
	v_not_b32_e32 v82, v84
	v_ashrrev_i32_e32 v76, 31, v76
	v_xor_b32_e32 v9, vcc_lo, v9
	v_cmp_gt_i32_e32 vcc_lo, 0, v84
	v_and_b32_e32 v8, v8, v87
	v_not_b32_e32 v84, v85
	v_ashrrev_i32_e32 v82, 31, v82
	v_xor_b32_e32 v76, s0, v76
	v_cmp_gt_i32_e64 s0, 0, v85
	v_and_b32_e32 v8, v8, v9
	v_not_b32_e32 v9, v86
	v_ashrrev_i32_e32 v84, 31, v84
	v_xor_b32_e32 v82, vcc_lo, v82
	v_cmp_gt_i32_e32 vcc_lo, 0, v86
	v_and_b32_e32 v8, v8, v76
	v_not_b32_e32 v76, v83
	v_ashrrev_i32_e32 v9, 31, v9
	v_xor_b32_e32 v84, s0, v84
	v_lshl_add_u32 v7, v7, 4, v7
	v_and_b32_e32 v8, v8, v82
	v_cmp_gt_i32_e64 s0, 0, v83
	v_ashrrev_i32_e32 v76, 31, v76
	v_xor_b32_e32 v9, vcc_lo, v9
	v_add_lshl_u32 v85, v3, v7, 2
	v_and_b32_e32 v8, v8, v84
	s_delay_alu instid0(VALU_DEP_4) | instskip(SKIP_2) | instid1(VALU_DEP_1)
	v_xor_b32_e32 v7, s0, v76
	ds_load_b32 v83, v85 offset:64
	v_and_b32_e32 v8, v8, v9
	; wave barrier
	v_and_b32_e32 v7, v8, v7
	s_delay_alu instid0(VALU_DEP_1) | instskip(SKIP_1) | instid1(VALU_DEP_2)
	v_mbcnt_lo_u32_b32 v84, v7, 0
	v_cmp_ne_u32_e64 s0, 0, v7
	v_cmp_eq_u32_e32 vcc_lo, 0, v84
	s_delay_alu instid0(VALU_DEP_2) | instskip(NEXT) | instid1(SALU_CYCLE_1)
	s_and_b32 s1, s0, vcc_lo
	s_and_saveexec_b32 s0, s1
	s_cbranch_execz .LBB24_261
; %bb.260:
	s_waitcnt lgkmcnt(0)
	v_bcnt_u32_b32 v7, v7, v83
	ds_store_b32 v85, v7 offset:64
.LBB24_261:
	s_or_b32 exec_lo, exec_lo, s0
	v_xor_b32_e32 v82, 0x80000000, v6
	; wave barrier
	s_delay_alu instid0(VALU_DEP_1) | instskip(NEXT) | instid1(VALU_DEP_1)
	v_lshrrev_b32_e32 v6, s64, v82
	v_and_b32_e32 v6, s6, v6
	s_delay_alu instid0(VALU_DEP_1)
	v_and_b32_e32 v7, 1, v6
	v_lshlrev_b32_e32 v8, 30, v6
	v_lshlrev_b32_e32 v9, 29, v6
	;; [unrolled: 1-line block ×4, first 2 shown]
	v_add_co_u32 v7, s0, v7, -1
	s_delay_alu instid0(VALU_DEP_1)
	v_cndmask_b32_e64 v86, 0, 1, s0
	v_not_b32_e32 v90, v8
	v_cmp_gt_i32_e64 s0, 0, v8
	v_not_b32_e32 v8, v9
	v_lshlrev_b32_e32 v88, 26, v6
	v_cmp_ne_u32_e32 vcc_lo, 0, v86
	v_ashrrev_i32_e32 v90, 31, v90
	v_lshlrev_b32_e32 v89, 25, v6
	v_ashrrev_i32_e32 v8, 31, v8
	v_lshlrev_b32_e32 v86, 24, v6
	v_xor_b32_e32 v7, vcc_lo, v7
	v_cmp_gt_i32_e32 vcc_lo, 0, v9
	v_not_b32_e32 v9, v76
	v_xor_b32_e32 v90, s0, v90
	v_cmp_gt_i32_e64 s0, 0, v76
	v_and_b32_e32 v7, exec_lo, v7
	v_not_b32_e32 v76, v87
	v_ashrrev_i32_e32 v9, 31, v9
	v_xor_b32_e32 v8, vcc_lo, v8
	v_cmp_gt_i32_e32 vcc_lo, 0, v87
	v_and_b32_e32 v7, v7, v90
	v_not_b32_e32 v87, v88
	v_ashrrev_i32_e32 v76, 31, v76
	v_xor_b32_e32 v9, s0, v9
	v_cmp_gt_i32_e64 s0, 0, v88
	v_and_b32_e32 v7, v7, v8
	v_not_b32_e32 v8, v89
	v_ashrrev_i32_e32 v87, 31, v87
	v_xor_b32_e32 v76, vcc_lo, v76
	v_cmp_gt_i32_e32 vcc_lo, 0, v89
	v_and_b32_e32 v7, v7, v9
	v_not_b32_e32 v9, v86
	v_ashrrev_i32_e32 v8, 31, v8
	v_xor_b32_e32 v87, s0, v87
	v_lshl_add_u32 v6, v6, 4, v6
	v_and_b32_e32 v7, v7, v76
	v_cmp_gt_i32_e64 s0, 0, v86
	v_ashrrev_i32_e32 v9, 31, v9
	v_xor_b32_e32 v8, vcc_lo, v8
	v_add_lshl_u32 v89, v3, v6, 2
	v_and_b32_e32 v7, v7, v87
	s_delay_alu instid0(VALU_DEP_4) | instskip(SKIP_2) | instid1(VALU_DEP_1)
	v_xor_b32_e32 v6, s0, v9
	ds_load_b32 v87, v89 offset:64
	v_and_b32_e32 v7, v7, v8
	; wave barrier
	v_and_b32_e32 v6, v7, v6
	s_delay_alu instid0(VALU_DEP_1) | instskip(SKIP_1) | instid1(VALU_DEP_2)
	v_mbcnt_lo_u32_b32 v88, v6, 0
	v_cmp_ne_u32_e64 s0, 0, v6
	v_cmp_eq_u32_e32 vcc_lo, 0, v88
	s_delay_alu instid0(VALU_DEP_2) | instskip(NEXT) | instid1(SALU_CYCLE_1)
	s_and_b32 s1, s0, vcc_lo
	s_and_saveexec_b32 s0, s1
	s_cbranch_execz .LBB24_263
; %bb.262:
	s_waitcnt lgkmcnt(0)
	v_bcnt_u32_b32 v6, v6, v87
	ds_store_b32 v89, v6 offset:64
.LBB24_263:
	s_or_b32 exec_lo, exec_lo, s0
	v_xor_b32_e32 v86, 0x80000000, v5
	; wave barrier
	s_delay_alu instid0(VALU_DEP_1) | instskip(NEXT) | instid1(VALU_DEP_1)
	v_lshrrev_b32_e32 v5, s64, v86
	v_and_b32_e32 v5, s6, v5
	s_delay_alu instid0(VALU_DEP_1)
	v_and_b32_e32 v6, 1, v5
	v_lshlrev_b32_e32 v7, 30, v5
	v_lshlrev_b32_e32 v8, 29, v5
	;; [unrolled: 1-line block ×4, first 2 shown]
	v_add_co_u32 v6, s0, v6, -1
	s_delay_alu instid0(VALU_DEP_1)
	v_cndmask_b32_e64 v76, 0, 1, s0
	v_not_b32_e32 v93, v7
	v_cmp_gt_i32_e64 s0, 0, v7
	v_not_b32_e32 v7, v8
	v_lshlrev_b32_e32 v91, 26, v5
	v_cmp_ne_u32_e32 vcc_lo, 0, v76
	v_ashrrev_i32_e32 v93, 31, v93
	v_lshlrev_b32_e32 v92, 25, v5
	v_ashrrev_i32_e32 v7, 31, v7
	v_lshlrev_b32_e32 v76, 24, v5
	v_xor_b32_e32 v6, vcc_lo, v6
	v_cmp_gt_i32_e32 vcc_lo, 0, v8
	v_not_b32_e32 v8, v9
	v_xor_b32_e32 v93, s0, v93
	v_cmp_gt_i32_e64 s0, 0, v9
	v_and_b32_e32 v6, exec_lo, v6
	v_not_b32_e32 v9, v90
	v_ashrrev_i32_e32 v8, 31, v8
	v_xor_b32_e32 v7, vcc_lo, v7
	v_cmp_gt_i32_e32 vcc_lo, 0, v90
	v_and_b32_e32 v6, v6, v93
	v_not_b32_e32 v90, v91
	v_ashrrev_i32_e32 v9, 31, v9
	v_xor_b32_e32 v8, s0, v8
	v_cmp_gt_i32_e64 s0, 0, v91
	v_and_b32_e32 v6, v6, v7
	v_not_b32_e32 v7, v92
	v_ashrrev_i32_e32 v90, 31, v90
	v_xor_b32_e32 v9, vcc_lo, v9
	v_cmp_gt_i32_e32 vcc_lo, 0, v92
	v_and_b32_e32 v6, v6, v8
	v_not_b32_e32 v8, v76
	v_ashrrev_i32_e32 v7, 31, v7
	v_xor_b32_e32 v90, s0, v90
	v_lshl_add_u32 v5, v5, 4, v5
	v_and_b32_e32 v6, v6, v9
	v_cmp_gt_i32_e64 s0, 0, v76
	v_ashrrev_i32_e32 v8, 31, v8
	v_xor_b32_e32 v7, vcc_lo, v7
	v_add_lshl_u32 v93, v3, v5, 2
	v_and_b32_e32 v6, v6, v90
	s_delay_alu instid0(VALU_DEP_4) | instskip(SKIP_2) | instid1(VALU_DEP_1)
	v_xor_b32_e32 v5, s0, v8
	ds_load_b32 v91, v93 offset:64
	v_and_b32_e32 v6, v6, v7
	; wave barrier
	v_and_b32_e32 v5, v6, v5
	s_delay_alu instid0(VALU_DEP_1) | instskip(SKIP_1) | instid1(VALU_DEP_2)
	v_mbcnt_lo_u32_b32 v92, v5, 0
	v_cmp_ne_u32_e64 s0, 0, v5
	v_cmp_eq_u32_e32 vcc_lo, 0, v92
	s_delay_alu instid0(VALU_DEP_2) | instskip(NEXT) | instid1(SALU_CYCLE_1)
	s_and_b32 s1, s0, vcc_lo
	s_and_saveexec_b32 s0, s1
	s_cbranch_execz .LBB24_265
; %bb.264:
	s_waitcnt lgkmcnt(0)
	v_bcnt_u32_b32 v5, v5, v91
	ds_store_b32 v93, v5 offset:64
.LBB24_265:
	s_or_b32 exec_lo, exec_lo, s0
	v_xor_b32_e32 v90, 0x80000000, v4
	; wave barrier
	s_delay_alu instid0(VALU_DEP_1) | instskip(NEXT) | instid1(VALU_DEP_1)
	v_lshrrev_b32_e32 v4, s64, v90
	v_and_b32_e32 v4, s6, v4
	s_delay_alu instid0(VALU_DEP_1)
	v_and_b32_e32 v5, 1, v4
	v_lshlrev_b32_e32 v6, 30, v4
	v_lshlrev_b32_e32 v7, 29, v4
	;; [unrolled: 1-line block ×4, first 2 shown]
	v_add_co_u32 v5, s0, v5, -1
	s_delay_alu instid0(VALU_DEP_1)
	v_cndmask_b32_e64 v9, 0, 1, s0
	v_not_b32_e32 v96, v6
	v_cmp_gt_i32_e64 s0, 0, v6
	v_not_b32_e32 v6, v7
	v_lshlrev_b32_e32 v94, 26, v4
	v_cmp_ne_u32_e32 vcc_lo, 0, v9
	v_ashrrev_i32_e32 v96, 31, v96
	v_lshlrev_b32_e32 v95, 25, v4
	v_ashrrev_i32_e32 v6, 31, v6
	v_lshlrev_b32_e32 v9, 24, v4
	v_xor_b32_e32 v5, vcc_lo, v5
	v_cmp_gt_i32_e32 vcc_lo, 0, v7
	v_not_b32_e32 v7, v8
	v_xor_b32_e32 v96, s0, v96
	v_cmp_gt_i32_e64 s0, 0, v8
	v_and_b32_e32 v5, exec_lo, v5
	v_not_b32_e32 v8, v76
	v_ashrrev_i32_e32 v7, 31, v7
	v_xor_b32_e32 v6, vcc_lo, v6
	v_cmp_gt_i32_e32 vcc_lo, 0, v76
	v_and_b32_e32 v5, v5, v96
	v_not_b32_e32 v76, v94
	v_ashrrev_i32_e32 v8, 31, v8
	v_xor_b32_e32 v7, s0, v7
	v_cmp_gt_i32_e64 s0, 0, v94
	v_and_b32_e32 v5, v5, v6
	v_not_b32_e32 v6, v95
	v_ashrrev_i32_e32 v76, 31, v76
	v_xor_b32_e32 v8, vcc_lo, v8
	v_cmp_gt_i32_e32 vcc_lo, 0, v95
	v_and_b32_e32 v5, v5, v7
	v_not_b32_e32 v7, v9
	v_ashrrev_i32_e32 v6, 31, v6
	v_xor_b32_e32 v76, s0, v76
	v_lshl_add_u32 v4, v4, 4, v4
	v_and_b32_e32 v5, v5, v8
	v_cmp_gt_i32_e64 s0, 0, v9
	v_ashrrev_i32_e32 v7, 31, v7
	v_xor_b32_e32 v6, vcc_lo, v6
	v_add_lshl_u32 v97, v3, v4, 2
	v_and_b32_e32 v5, v5, v76
	s_delay_alu instid0(VALU_DEP_4) | instskip(SKIP_2) | instid1(VALU_DEP_1)
	v_xor_b32_e32 v4, s0, v7
	ds_load_b32 v95, v97 offset:64
	v_and_b32_e32 v5, v5, v6
	; wave barrier
	v_and_b32_e32 v4, v5, v4
	s_delay_alu instid0(VALU_DEP_1) | instskip(SKIP_1) | instid1(VALU_DEP_2)
	v_mbcnt_lo_u32_b32 v96, v4, 0
	v_cmp_ne_u32_e64 s0, 0, v4
	v_cmp_eq_u32_e32 vcc_lo, 0, v96
	s_delay_alu instid0(VALU_DEP_2) | instskip(NEXT) | instid1(SALU_CYCLE_1)
	s_and_b32 s1, s0, vcc_lo
	s_and_saveexec_b32 s0, s1
	s_cbranch_execz .LBB24_267
; %bb.266:
	s_waitcnt lgkmcnt(0)
	v_bcnt_u32_b32 v4, v4, v95
	ds_store_b32 v97, v4 offset:64
.LBB24_267:
	s_or_b32 exec_lo, exec_lo, s0
	v_xor_b32_e32 v94, 0x80000000, v2
	; wave barrier
	v_add_nc_u32_e32 v101, 64, v15
	s_delay_alu instid0(VALU_DEP_2) | instskip(NEXT) | instid1(VALU_DEP_1)
	v_lshrrev_b32_e32 v2, s64, v94
	v_and_b32_e32 v2, s6, v2
	s_delay_alu instid0(VALU_DEP_1)
	v_and_b32_e32 v4, 1, v2
	v_lshlrev_b32_e32 v5, 30, v2
	v_lshlrev_b32_e32 v6, 29, v2
	;; [unrolled: 1-line block ×4, first 2 shown]
	v_add_co_u32 v4, s0, v4, -1
	s_delay_alu instid0(VALU_DEP_1)
	v_cndmask_b32_e64 v8, 0, 1, s0
	v_not_b32_e32 v99, v5
	v_cmp_gt_i32_e64 s0, 0, v5
	v_not_b32_e32 v5, v6
	v_lshlrev_b32_e32 v76, 26, v2
	v_cmp_ne_u32_e32 vcc_lo, 0, v8
	v_ashrrev_i32_e32 v99, 31, v99
	v_lshlrev_b32_e32 v98, 25, v2
	v_ashrrev_i32_e32 v5, 31, v5
	v_lshlrev_b32_e32 v8, 24, v2
	v_xor_b32_e32 v4, vcc_lo, v4
	v_cmp_gt_i32_e32 vcc_lo, 0, v6
	v_not_b32_e32 v6, v7
	v_xor_b32_e32 v99, s0, v99
	v_cmp_gt_i32_e64 s0, 0, v7
	v_and_b32_e32 v4, exec_lo, v4
	v_not_b32_e32 v7, v9
	v_ashrrev_i32_e32 v6, 31, v6
	v_xor_b32_e32 v5, vcc_lo, v5
	v_cmp_gt_i32_e32 vcc_lo, 0, v9
	v_and_b32_e32 v4, v4, v99
	v_not_b32_e32 v9, v76
	v_ashrrev_i32_e32 v7, 31, v7
	v_xor_b32_e32 v6, s0, v6
	v_cmp_gt_i32_e64 s0, 0, v76
	v_and_b32_e32 v4, v4, v5
	v_not_b32_e32 v5, v98
	v_ashrrev_i32_e32 v9, 31, v9
	v_xor_b32_e32 v7, vcc_lo, v7
	v_cmp_gt_i32_e32 vcc_lo, 0, v98
	v_and_b32_e32 v4, v4, v6
	v_not_b32_e32 v6, v8
	v_ashrrev_i32_e32 v5, 31, v5
	v_xor_b32_e32 v9, s0, v9
	v_lshl_add_u32 v2, v2, 4, v2
	v_and_b32_e32 v4, v4, v7
	v_cmp_gt_i32_e64 s0, 0, v8
	v_ashrrev_i32_e32 v6, 31, v6
	v_xor_b32_e32 v5, vcc_lo, v5
	v_add_lshl_u32 v100, v3, v2, 2
	v_and_b32_e32 v4, v4, v9
	s_delay_alu instid0(VALU_DEP_4) | instskip(SKIP_2) | instid1(VALU_DEP_1)
	v_xor_b32_e32 v2, s0, v6
	ds_load_b32 v98, v100 offset:64
	v_and_b32_e32 v3, v4, v5
	; wave barrier
	v_and_b32_e32 v2, v3, v2
	s_delay_alu instid0(VALU_DEP_1) | instskip(SKIP_1) | instid1(VALU_DEP_2)
	v_mbcnt_lo_u32_b32 v99, v2, 0
	v_cmp_ne_u32_e64 s0, 0, v2
	v_cmp_eq_u32_e32 vcc_lo, 0, v99
	s_delay_alu instid0(VALU_DEP_2) | instskip(NEXT) | instid1(SALU_CYCLE_1)
	s_and_b32 s1, s0, vcc_lo
	s_and_saveexec_b32 s0, s1
	s_cbranch_execz .LBB24_269
; %bb.268:
	s_waitcnt lgkmcnt(0)
	v_bcnt_u32_b32 v2, v2, v98
	ds_store_b32 v100, v2 offset:64
.LBB24_269:
	s_or_b32 exec_lo, exec_lo, s0
	; wave barrier
	s_waitcnt lgkmcnt(0)
	s_barrier
	buffer_gl0_inv
	ds_load_2addr_b32 v[8:9], v15 offset0:16 offset1:17
	ds_load_2addr_b32 v[6:7], v101 offset0:2 offset1:3
	;; [unrolled: 1-line block ×4, first 2 shown]
	ds_load_b32 v76, v101 offset:32
	v_min_u32_e32 v13, 0x1e0, v13
	s_mov_b32 s7, exec_lo
	s_delay_alu instid0(VALU_DEP_1) | instskip(SKIP_3) | instid1(VALU_DEP_1)
	v_or_b32_e32 v104, 31, v13
	s_waitcnt lgkmcnt(3)
	v_add3_u32 v102, v9, v8, v6
	s_waitcnt lgkmcnt(2)
	v_add3_u32 v102, v102, v7, v4
	s_waitcnt lgkmcnt(1)
	s_delay_alu instid0(VALU_DEP_1) | instskip(SKIP_1) | instid1(VALU_DEP_1)
	v_add3_u32 v102, v102, v5, v2
	s_waitcnt lgkmcnt(0)
	v_add3_u32 v76, v102, v3, v76
	v_and_b32_e32 v102, 15, v11
	s_delay_alu instid0(VALU_DEP_2) | instskip(NEXT) | instid1(VALU_DEP_2)
	v_mov_b32_dpp v103, v76 row_shr:1 row_mask:0xf bank_mask:0xf
	v_cmp_eq_u32_e32 vcc_lo, 0, v102
	v_cmp_lt_u32_e64 s0, 1, v102
	v_cmp_lt_u32_e64 s1, 3, v102
	;; [unrolled: 1-line block ×3, first 2 shown]
	v_cndmask_b32_e64 v103, v103, 0, vcc_lo
	s_delay_alu instid0(VALU_DEP_1) | instskip(NEXT) | instid1(VALU_DEP_1)
	v_add_nc_u32_e32 v76, v103, v76
	v_mov_b32_dpp v103, v76 row_shr:2 row_mask:0xf bank_mask:0xf
	s_delay_alu instid0(VALU_DEP_1) | instskip(NEXT) | instid1(VALU_DEP_1)
	v_cndmask_b32_e64 v103, 0, v103, s0
	v_add_nc_u32_e32 v76, v76, v103
	s_delay_alu instid0(VALU_DEP_1) | instskip(NEXT) | instid1(VALU_DEP_1)
	v_mov_b32_dpp v103, v76 row_shr:4 row_mask:0xf bank_mask:0xf
	v_cndmask_b32_e64 v103, 0, v103, s1
	s_delay_alu instid0(VALU_DEP_1) | instskip(NEXT) | instid1(VALU_DEP_1)
	v_add_nc_u32_e32 v76, v76, v103
	v_mov_b32_dpp v103, v76 row_shr:8 row_mask:0xf bank_mask:0xf
	s_delay_alu instid0(VALU_DEP_1) | instskip(SKIP_1) | instid1(VALU_DEP_2)
	v_cndmask_b32_e64 v102, 0, v103, s2
	v_bfe_i32 v103, v11, 4, 1
	v_add_nc_u32_e32 v76, v76, v102
	ds_swizzle_b32 v102, v76 offset:swizzle(BROADCAST,32,15)
	s_waitcnt lgkmcnt(0)
	v_and_b32_e32 v103, v103, v102
	v_lshrrev_b32_e32 v102, 5, v1
	s_delay_alu instid0(VALU_DEP_2)
	v_add_nc_u32_e32 v13, v76, v103
	v_cmpx_eq_u32_e64 v104, v1
	s_cbranch_execz .LBB24_271
; %bb.270:
	s_delay_alu instid0(VALU_DEP_3)
	v_lshlrev_b32_e32 v76, 2, v102
	ds_store_b32 v76, v13
.LBB24_271:
	s_or_b32 exec_lo, exec_lo, s7
	v_lshlrev_b32_e32 v76, 2, v1
	s_mov_b32 s7, exec_lo
	s_waitcnt lgkmcnt(0)
	s_barrier
	buffer_gl0_inv
	v_cmpx_gt_u32_e32 16, v1
	s_cbranch_execz .LBB24_273
; %bb.272:
	ds_load_b32 v103, v76
	s_waitcnt lgkmcnt(0)
	v_mov_b32_dpp v104, v103 row_shr:1 row_mask:0xf bank_mask:0xf
	s_delay_alu instid0(VALU_DEP_1) | instskip(NEXT) | instid1(VALU_DEP_1)
	v_cndmask_b32_e64 v104, v104, 0, vcc_lo
	v_add_nc_u32_e32 v103, v104, v103
	s_delay_alu instid0(VALU_DEP_1) | instskip(NEXT) | instid1(VALU_DEP_1)
	v_mov_b32_dpp v104, v103 row_shr:2 row_mask:0xf bank_mask:0xf
	v_cndmask_b32_e64 v104, 0, v104, s0
	s_delay_alu instid0(VALU_DEP_1) | instskip(NEXT) | instid1(VALU_DEP_1)
	v_add_nc_u32_e32 v103, v103, v104
	v_mov_b32_dpp v104, v103 row_shr:4 row_mask:0xf bank_mask:0xf
	s_delay_alu instid0(VALU_DEP_1) | instskip(NEXT) | instid1(VALU_DEP_1)
	v_cndmask_b32_e64 v104, 0, v104, s1
	v_add_nc_u32_e32 v103, v103, v104
	s_delay_alu instid0(VALU_DEP_1) | instskip(NEXT) | instid1(VALU_DEP_1)
	v_mov_b32_dpp v104, v103 row_shr:8 row_mask:0xf bank_mask:0xf
	v_cndmask_b32_e64 v104, 0, v104, s2
	s_delay_alu instid0(VALU_DEP_1)
	v_add_nc_u32_e32 v103, v103, v104
	ds_store_b32 v76, v103
.LBB24_273:
	s_or_b32 exec_lo, exec_lo, s7
	v_mov_b32_e32 v103, 0
	s_mov_b32 s0, exec_lo
	s_waitcnt lgkmcnt(0)
	s_barrier
	buffer_gl0_inv
	v_cmpx_lt_u32_e32 31, v1
	s_cbranch_execz .LBB24_275
; %bb.274:
	v_lshl_add_u32 v102, v102, 2, -4
	ds_load_b32 v103, v102
.LBB24_275:
	s_or_b32 exec_lo, exec_lo, s0
	v_add_nc_u32_e32 v102, -1, v11
	v_cmp_lt_u32_e64 s0, 0xff, v1
	s_waitcnt lgkmcnt(0)
	v_add_nc_u32_e32 v13, v103, v13
	s_delay_alu instid0(VALU_DEP_3) | instskip(SKIP_2) | instid1(VALU_DEP_2)
	v_cmp_gt_i32_e32 vcc_lo, 0, v102
	v_cndmask_b32_e32 v102, v102, v11, vcc_lo
	v_cmp_eq_u32_e32 vcc_lo, 0, v11
	v_lshlrev_b32_e32 v102, 2, v102
	ds_bpermute_b32 v13, v102, v13
	s_waitcnt lgkmcnt(0)
	v_cndmask_b32_e32 v13, v13, v103, vcc_lo
	v_cmp_ne_u32_e32 vcc_lo, 0, v1
	s_delay_alu instid0(VALU_DEP_2) | instskip(SKIP_1) | instid1(VALU_DEP_2)
	v_cndmask_b32_e32 v13, 0, v13, vcc_lo
	v_cmp_gt_u32_e32 vcc_lo, 0x100, v1
	v_add_nc_u32_e32 v8, v13, v8
	s_delay_alu instid0(VALU_DEP_1) | instskip(NEXT) | instid1(VALU_DEP_1)
	v_add_nc_u32_e32 v9, v8, v9
	v_add_nc_u32_e32 v6, v9, v6
	s_delay_alu instid0(VALU_DEP_1) | instskip(NEXT) | instid1(VALU_DEP_1)
	v_add_nc_u32_e32 v7, v6, v7
	v_add_nc_u32_e32 v4, v7, v4
	s_delay_alu instid0(VALU_DEP_1) | instskip(NEXT) | instid1(VALU_DEP_1)
	v_add_nc_u32_e32 v5, v4, v5
	v_add_nc_u32_e32 v2, v5, v2
	s_delay_alu instid0(VALU_DEP_1)
	v_add_nc_u32_e32 v3, v2, v3
	ds_store_2addr_b32 v15, v13, v8 offset0:16 offset1:17
	ds_store_2addr_b32 v101, v9, v6 offset0:2 offset1:3
	;; [unrolled: 1-line block ×4, first 2 shown]
	ds_store_b32 v101, v3 offset:32
	s_waitcnt lgkmcnt(0)
	s_barrier
	buffer_gl0_inv
	ds_load_b32 v2, v16 offset:64
	ds_load_b32 v5, v20 offset:64
	;; [unrolled: 1-line block ×22, first 2 shown]
	v_mov_b32_e32 v3, 0
	v_mov_b32_e32 v4, 0
                                        ; implicit-def: $vgpr13
	s_and_saveexec_b32 s2, vcc_lo
	s_cbranch_execz .LBB24_279
; %bb.276:
	v_mul_u32_u24_e32 v3, 17, v1
	s_mov_b32 s3, exec_lo
	s_delay_alu instid0(VALU_DEP_1)
	v_dual_mov_b32 v4, 0x2c00 :: v_dual_lshlrev_b32 v13, 2, v3
	ds_load_b32 v3, v13 offset:64
	v_cmpx_ne_u32_e32 0xff, v1
	s_cbranch_execz .LBB24_278
; %bb.277:
	ds_load_b32 v4, v13 offset:132
.LBB24_278:
	s_or_b32 exec_lo, exec_lo, s3
	s_waitcnt lgkmcnt(0)
	v_sub_nc_u32_e32 v13, v4, v3
	v_mov_b32_e32 v4, 0
.LBB24_279:
	s_or_b32 exec_lo, exec_lo, s2
	s_waitcnt lgkmcnt(21)
	v_add_nc_u32_e32 v14, v2, v14
	s_waitcnt lgkmcnt(20)
	v_add3_u32 v15, v19, v18, v5
	s_waitcnt lgkmcnt(19)
	v_add3_u32 v16, v23, v22, v6
	;; [unrolled: 2-line block ×4, first 2 shown]
	v_lshlrev_b32_e32 v2, 2, v14
	v_lshlrev_b32_e32 v5, 2, v15
	s_waitcnt lgkmcnt(16)
	v_add3_u32 v20, v35, v34, v9
	s_waitcnt lgkmcnt(15)
	v_add3_u32 v22, v39, v38, v24
	;; [unrolled: 2-line block ×3, first 2 shown]
	s_waitcnt lgkmcnt(0)
	s_barrier
	buffer_gl0_inv
	ds_store_b32 v2, v10 offset:2048
	ds_store_b32 v5, v0 offset:2048
	v_lshlrev_b32_e32 v0, 2, v16
	v_add3_u32 v24, v47, v46, v32
	v_lshlrev_b32_e32 v2, 2, v18
	v_add3_u32 v26, v52, v51, v36
	;; [unrolled: 2-line block ×5, first 2 shown]
	ds_store_b32 v0, v17 offset:2048
	ds_store_b32 v2, v21 offset:2048
	;; [unrolled: 1-line block ×5, first 2 shown]
	v_lshlrev_b32_e32 v0, 2, v23
	v_add3_u32 v31, v67, v66, v53
	v_lshlrev_b32_e32 v2, 2, v24
	v_add3_u32 v32, v71, v70, v58
	;; [unrolled: 2-line block ×5, first 2 shown]
	v_add3_u32 v38, v88, v87, v72
	ds_store_b32 v0, v37 offset:2048
	ds_store_b32 v2, v41 offset:2048
	;; [unrolled: 1-line block ×5, first 2 shown]
	v_lshlrev_b32_e32 v0, 2, v30
	v_lshlrev_b32_e32 v2, 2, v31
	v_add3_u32 v39, v92, v91, v77
	v_lshlrev_b32_e32 v5, 2, v32
	v_add3_u32 v40, v96, v95, v81
	;; [unrolled: 2-line block ×3, first 2 shown]
	v_lshlrev_b32_e32 v7, 2, v35
	ds_store_b32 v0, v59 offset:2048
	ds_store_b32 v2, v54 offset:2048
	;; [unrolled: 1-line block ×5, first 2 shown]
	v_lshlrev_b32_e32 v0, 2, v36
	v_lshlrev_b32_e32 v2, 2, v38
	;; [unrolled: 1-line block ×5, first 2 shown]
	ds_store_b32 v0, v78 offset:2048
	ds_store_b32 v2, v82 offset:2048
	;; [unrolled: 1-line block ×5, first 2 shown]
	s_waitcnt lgkmcnt(0)
	s_barrier
	buffer_gl0_inv
	s_and_saveexec_b32 s1, s0
	s_delay_alu instid0(SALU_CYCLE_1)
	s_xor_b32 s0, exec_lo, s1
; %bb.280:
	v_mov_b32_e32 v2, 0
; %bb.281:
	s_and_not1_saveexec_b32 s1, s0
	s_cbranch_execz .LBB24_291
; %bb.282:
	v_lshl_or_b32 v7, s15, 8, v1
	v_mov_b32_e32 v8, 0
	v_or_b32_e32 v2, 2.0, v13
	v_mov_b32_e32 v0, 0
	s_mov_b32 s2, 0
	s_mov_b32 s3, s15
	v_lshlrev_b64 v[5:6], 2, v[7:8]
	s_delay_alu instid0(VALU_DEP_1) | instskip(NEXT) | instid1(VALU_DEP_1)
	v_add_co_u32 v5, s0, s68, v5
	v_add_co_ci_u32_e64 v6, s0, s69, v6, s0
                                        ; implicit-def: $sgpr0
	global_store_b32 v[5:6], v2, off
	s_branch .LBB24_285
	.p2align	6
.LBB24_283:                             ;   in Loop: Header=BB24_285 Depth=1
	s_or_b32 exec_lo, exec_lo, s8
.LBB24_284:                             ;   in Loop: Header=BB24_285 Depth=1
	s_delay_alu instid0(SALU_CYCLE_1) | instskip(SKIP_2) | instid1(VALU_DEP_2)
	s_or_b32 exec_lo, exec_lo, s7
	v_and_b32_e32 v7, 0x3fffffff, v7
	v_cmp_eq_u32_e64 s0, 0x80000000, v2
	v_add_nc_u32_e32 v0, v7, v0
	s_delay_alu instid0(VALU_DEP_2) | instskip(NEXT) | instid1(SALU_CYCLE_1)
	s_and_b32 s7, exec_lo, s0
	s_or_b32 s2, s7, s2
	s_delay_alu instid0(SALU_CYCLE_1)
	s_and_not1_b32 exec_lo, exec_lo, s2
	s_cbranch_execz .LBB24_290
.LBB24_285:                             ; =>This Loop Header: Depth=1
                                        ;     Child Loop BB24_288 Depth 2
	s_or_b32 s0, s0, exec_lo
	s_cmp_eq_u32 s3, 0
	s_cbranch_scc1 .LBB24_289
; %bb.286:                              ;   in Loop: Header=BB24_285 Depth=1
	s_add_i32 s3, s3, -1
	s_mov_b32 s7, exec_lo
	v_lshl_or_b32 v7, s3, 8, v1
	s_delay_alu instid0(VALU_DEP_1) | instskip(NEXT) | instid1(VALU_DEP_1)
	v_lshlrev_b64 v[9:10], 2, v[7:8]
	v_add_co_u32 v9, s0, s68, v9
	s_delay_alu instid0(VALU_DEP_1) | instskip(SKIP_3) | instid1(VALU_DEP_1)
	v_add_co_ci_u32_e64 v10, s0, s69, v10, s0
	global_load_b32 v7, v[9:10], off glc
	s_waitcnt vmcnt(0)
	v_and_b32_e32 v2, -2.0, v7
	v_cmpx_eq_u32_e32 0, v2
	s_cbranch_execz .LBB24_284
; %bb.287:                              ;   in Loop: Header=BB24_285 Depth=1
	s_mov_b32 s8, 0
.LBB24_288:                             ;   Parent Loop BB24_285 Depth=1
                                        ; =>  This Inner Loop Header: Depth=2
	global_load_b32 v7, v[9:10], off glc
	s_waitcnt vmcnt(0)
	v_and_b32_e32 v2, -2.0, v7
	s_delay_alu instid0(VALU_DEP_1) | instskip(NEXT) | instid1(VALU_DEP_1)
	v_cmp_ne_u32_e64 s0, 0, v2
	s_or_b32 s8, s0, s8
	s_delay_alu instid0(SALU_CYCLE_1)
	s_and_not1_b32 exec_lo, exec_lo, s8
	s_cbranch_execnz .LBB24_288
	s_branch .LBB24_283
.LBB24_289:                             ;   in Loop: Header=BB24_285 Depth=1
                                        ; implicit-def: $sgpr3
	s_and_b32 s7, exec_lo, s0
	s_delay_alu instid0(SALU_CYCLE_1) | instskip(NEXT) | instid1(SALU_CYCLE_1)
	s_or_b32 s2, s7, s2
	s_and_not1_b32 exec_lo, exec_lo, s2
	s_cbranch_execnz .LBB24_285
.LBB24_290:
	s_or_b32 exec_lo, exec_lo, s2
	v_add_nc_u32_e32 v2, v0, v13
	v_lshlrev_b32_e32 v7, 3, v1
	v_sub_co_u32 v0, s0, v0, v3
	s_delay_alu instid0(VALU_DEP_3)
	v_or_b32_e32 v2, 0x80000000, v2
	global_store_b32 v[5:6], v2, off
	global_load_b64 v[5:6], v7, s[60:61]
	v_sub_co_ci_u32_e64 v2, s0, 0, v4, s0
	s_waitcnt vmcnt(0)
	v_add_co_u32 v5, s0, v0, v5
	s_delay_alu instid0(VALU_DEP_1)
	v_add_co_ci_u32_e64 v6, s0, v2, v6, s0
	v_mov_b32_e32 v2, 0
	ds_store_b64 v7, v[5:6]
.LBB24_291:
	s_or_b32 exec_lo, exec_lo, s1
	s_waitcnt lgkmcnt(0)
	s_waitcnt_vscnt null, 0x0
	s_barrier
	buffer_gl0_inv
	ds_load_2addr_stride64_b32 v[5:6], v76 offset0:16 offset1:24
	ds_load_2addr_stride64_b32 v[7:8], v76 offset0:32 offset1:40
	;; [unrolled: 1-line block ×3, first 2 shown]
	v_lshlrev_b32_e32 v0, 2, v1
	v_lshlrev_b64 v[52:53], 2, v[1:2]
	v_add_nc_u32_e32 v33, 0x1800, v76
	v_add_nc_u32_e32 v70, 0x1e00, v1
	;; [unrolled: 1-line block ×3, first 2 shown]
	ds_load_b32 v17, v0 offset:2048
	s_waitcnt lgkmcnt(3)
	v_lshrrev_b32_e32 v0, s64, v5
	s_waitcnt lgkmcnt(2)
	v_lshrrev_b32_e32 v21, s64, v7
	;; [unrolled: 2-line block ×3, first 2 shown]
	v_lshrrev_b32_e32 v41, s64, v6
	v_lshrrev_b32_e32 v47, s64, v8
	v_and_b32_e32 v0, s6, v0
	v_and_b32_e32 v21, s6, v21
	;; [unrolled: 1-line block ×3, first 2 shown]
	v_lshrrev_b32_e32 v48, s64, v10
	v_and_b32_e32 v41, s6, v41
	v_lshlrev_b32_e32 v37, 3, v0
	v_lshlrev_b32_e32 v29, 3, v21
	s_waitcnt lgkmcnt(0)
	v_lshrrev_b32_e32 v21, s64, v17
	v_lshlrev_b32_e32 v0, 3, v25
	ds_load_b64 v[43:44], v37
	ds_load_b64 v[45:46], v29
	;; [unrolled: 1-line block ×3, first 2 shown]
	v_and_b32_e32 v21, s6, v21
	v_xor_b32_e32 v62, 0x80000000, v7
	ds_load_2addr_stride64_b32 v[54:55], v76 offset0:64 offset1:72
	v_or_b32_e32 v25, 0x1000, v76
	v_xor_b32_e32 v17, 0x80000000, v17
	v_lshlrev_b32_e32 v49, 3, v21
	v_xor_b32_e32 v21, 0x80000000, v5
	v_and_b32_e32 v5, s6, v47
	v_and_b32_e32 v47, s6, v48
	v_lshlrev_b32_e32 v48, 3, v41
	ds_load_b64 v[56:57], v49
	v_xor_b32_e32 v41, 0x80000000, v6
	v_lshlrev_b32_e32 v6, 3, v5
	v_lshlrev_b32_e32 v5, 3, v47
	ds_load_b64 v[58:59], v48
	v_xor_b32_e32 v47, 0x80000000, v8
	s_waitcnt lgkmcnt(5)
	v_lshlrev_b64 v[7:8], 2, v[43:44]
	s_waitcnt lgkmcnt(4)
	v_lshlrev_b64 v[45:46], 2, v[45:46]
	ds_load_b64 v[43:44], v6
	ds_load_b64 v[60:61], v5
	v_add_co_u32 v63, s0, s54, v7
	s_delay_alu instid0(VALU_DEP_1) | instskip(SKIP_1) | instid1(VALU_DEP_1)
	v_add_co_ci_u32_e64 v64, s0, s55, v8, s0
	v_add_co_u32 v65, s0, s54, v45
	v_add_co_ci_u32_e64 v66, s0, s55, v46, s0
	s_waitcnt lgkmcnt(3)
	v_lshlrev_b64 v[7:8], 2, v[56:57]
	v_add_co_u32 v45, s0, v63, v52
	s_waitcnt lgkmcnt(2)
	v_lshlrev_b64 v[56:57], 2, v[58:59]
	v_add_co_ci_u32_e64 v46, s0, v64, v53, s0
	s_delay_alu instid0(VALU_DEP_4) | instskip(NEXT) | instid1(VALU_DEP_1)
	v_add_co_u32 v7, s0, s54, v7
	v_add_co_ci_u32_e64 v8, s0, s55, v8, s0
	s_delay_alu instid0(VALU_DEP_4) | instskip(NEXT) | instid1(VALU_DEP_1)
	v_add_co_u32 v56, s0, s54, v56
	;; [unrolled: 3-line block ×3, first 2 shown]
	v_add_co_ci_u32_e64 v8, s0, v8, v53, s0
	s_delay_alu instid0(VALU_DEP_4) | instskip(SKIP_4) | instid1(VALU_DEP_1)
	v_add_co_u32 v52, s0, v56, v25
	s_waitcnt lgkmcnt(1)
	v_lshlrev_b64 v[43:44], 2, v[43:44]
	v_add_co_ci_u32_e64 v53, s0, 0, v57, s0
	v_add_co_u32 v56, s0, v65, v33
	v_add_co_ci_u32_e64 v57, s0, 0, v66, s0
	s_clause 0x3
	global_store_b32 v[7:8], v17, off
	global_store_b32 v[45:46], v21, off offset:2048
	global_store_b32 v[52:53], v41, off
	global_store_b32 v[56:57], v62, off
	v_add_co_u32 v17, s0, s54, v43
	v_or_b32_e32 v25, 0x2000, v76
	v_add_co_ci_u32_e64 v21, s0, s55, v44, s0
	v_lshrrev_b32_e32 v33, s64, v54
	ds_load_2addr_stride64_b32 v[43:44], v76 offset0:80 offset1:88
	v_add_co_u32 v45, s0, v17, v25
	v_lshlrev_b64 v[7:8], 2, v[50:51]
	v_add_co_ci_u32_e64 v46, s0, 0, v21, s0
	v_and_b32_e32 v21, s6, v33
	v_xor_b32_e32 v17, 0x80000000, v9
	v_add_nc_u32_e32 v9, 0x2800, v76
	v_add_co_u32 v25, s0, s54, v7
	s_delay_alu instid0(VALU_DEP_4) | instskip(SKIP_2) | instid1(VALU_DEP_4)
	v_lshlrev_b32_e32 v7, 3, v21
	v_lshrrev_b32_e32 v21, s64, v55
	v_add_co_ci_u32_e64 v8, s0, s55, v8, s0
	v_add_co_u32 v50, s0, v25, v9
	ds_load_b64 v[52:53], v7
	v_and_b32_e32 v21, s6, v21
	v_add_co_ci_u32_e64 v51, s0, 0, v8, s0
	s_waitcnt lgkmcnt(2)
	v_lshlrev_b64 v[8:9], 2, v[60:61]
	s_waitcnt lgkmcnt(1)
	v_lshrrev_b32_e32 v25, s64, v43
	v_lshrrev_b32_e32 v33, s64, v44
	v_xor_b32_e32 v41, 0x80000000, v10
	v_lshlrev_b32_e32 v10, 3, v21
	v_or_b32_e32 v58, 0x3000, v76
	v_and_b32_e32 v21, s6, v25
	v_and_b32_e32 v25, s6, v33
	v_add_co_u32 v33, s0, s54, v8
	ds_load_b64 v[56:57], v10
	v_add_co_ci_u32_e64 v59, s0, s55, v9, s0
	v_lshlrev_b32_e32 v8, 3, v21
	v_add_co_u32 v58, s0, v33, v58
	v_lshlrev_b32_e32 v9, 3, v25
	s_delay_alu instid0(VALU_DEP_4)
	v_add_co_ci_u32_e64 v59, s0, 0, v59, s0
	ds_load_b64 v[60:61], v8
	ds_load_b64 v[62:63], v9
	s_waitcnt lgkmcnt(3)
	v_lshlrev_b64 v[52:53], 2, v[52:53]
	s_clause 0x2
	global_store_b32 v[45:46], v47, off
	global_store_b32 v[50:51], v17, off
	;; [unrolled: 1-line block ×3, first 2 shown]
	ds_load_2addr_stride64_b32 v[50:51], v76 offset0:96 offset1:104
	v_add_nc_u32_e32 v41, 0x3800, v76
	v_or_b32_e32 v17, 0x1000, v1
	v_xor_b32_e32 v21, 0x80000000, v54
	v_add_co_u32 v25, s0, s54, v52
	s_delay_alu instid0(VALU_DEP_1) | instskip(SKIP_2) | instid1(VALU_DEP_3)
	v_add_co_ci_u32_e64 v33, s0, s55, v53, s0
	s_waitcnt lgkmcnt(3)
	v_lshlrev_b64 v[45:46], 2, v[56:57]
	v_add_co_u32 v52, s0, v25, v41
	s_delay_alu instid0(VALU_DEP_1) | instskip(SKIP_1) | instid1(VALU_DEP_4)
	v_add_co_ci_u32_e64 v53, s0, 0, v33, s0
	v_lshlrev_b32_e32 v25, 2, v17
	v_add_co_u32 v33, s0, s54, v45
	global_store_b32 v[52:53], v21, off
	ds_load_2addr_stride64_b32 v[52:53], v76 offset0:112 offset1:120
	v_add_co_ci_u32_e64 v41, s0, s55, v46, s0
	v_add_co_u32 v45, s0, v33, v25
	s_waitcnt lgkmcnt(1)
	v_lshrrev_b32_e32 v33, s64, v50
	v_xor_b32_e32 v47, 0x80000000, v55
	v_add_co_ci_u32_e64 v46, s0, 0, v41, s0
	v_lshlrev_b64 v[54:55], 2, v[60:61]
	s_delay_alu instid0(VALU_DEP_4)
	v_and_b32_e32 v33, s6, v33
	v_add_nc_u32_e32 v21, 0x1200, v1
	v_lshrrev_b32_e32 v56, s64, v51
	global_store_b32 v[45:46], v47, off
	v_xor_b32_e32 v64, 0x80000000, v43
	v_lshlrev_b32_e32 v45, 3, v33
	v_lshlrev_b32_e32 v25, 2, v21
	v_add_co_u32 v41, s0, s54, v54
	s_delay_alu instid0(VALU_DEP_1)
	v_add_co_ci_u32_e64 v43, s0, s55, v55, s0
	v_and_b32_e32 v33, s6, v56
	v_lshlrev_b64 v[54:55], 2, v[62:63]
	ds_load_b64 v[56:57], v45
	v_add_co_u32 v46, s0, v41, v25
	s_waitcnt lgkmcnt(1)
	v_lshrrev_b32_e32 v41, s64, v52
	v_add_co_ci_u32_e64 v47, s0, 0, v43, s0
	v_lshrrev_b32_e32 v43, s64, v53
	v_xor_b32_e32 v65, 0x80000000, v44
	v_lshlrev_b32_e32 v44, 3, v33
	v_or_b32_e32 v25, 0x1400, v1
	v_add_co_u32 v58, s0, s54, v54
	v_and_b32_e32 v33, s6, v41
	v_and_b32_e32 v43, s6, v43
	v_add_co_ci_u32_e64 v59, s0, s55, v55, s0
	ds_load_b64 v[54:55], v44
	v_lshlrev_b32_e32 v60, 2, v25
	v_lshlrev_b32_e32 v41, 3, v33
	;; [unrolled: 1-line block ×3, first 2 shown]
	s_waitcnt lgkmcnt(1)
	v_lshlrev_b64 v[56:57], 2, v[56:57]
	v_add_nc_u32_e32 v43, 0x1600, v1
	v_add_co_u32 v58, s0, v58, v60
	s_delay_alu instid0(VALU_DEP_1)
	v_add_co_ci_u32_e64 v59, s0, 0, v59, s0
	ds_load_b64 v[60:61], v41
	ds_load_b64 v[62:63], v33
	s_clause 0x1
	global_store_b32 v[46:47], v64, off
	global_store_b32 v[58:59], v65, off
	ds_load_2addr_stride64_b32 v[58:59], v76 offset0:128 offset1:136
	v_xor_b32_e32 v64, 0x80000000, v50
	v_lshlrev_b32_e32 v47, 2, v43
	v_add_co_u32 v50, s0, s54, v56
	s_delay_alu instid0(VALU_DEP_1) | instskip(SKIP_4) | instid1(VALU_DEP_1)
	v_add_co_ci_u32_e64 v57, s0, s55, v57, s0
	s_waitcnt lgkmcnt(3)
	v_lshlrev_b64 v[54:55], 2, v[54:55]
	v_or_b32_e32 v46, 0x1800, v1
	v_add_co_u32 v56, s0, v50, v47
	v_add_co_ci_u32_e64 v57, s0, 0, v57, s0
	s_delay_alu instid0(VALU_DEP_3)
	v_lshlrev_b32_e32 v66, 2, v46
	v_add_co_u32 v54, s0, s54, v54
	v_xor_b32_e32 v65, 0x80000000, v51
	v_add_co_ci_u32_e64 v55, s0, s55, v55, s0
	s_waitcnt lgkmcnt(2)
	v_lshlrev_b64 v[50:51], 2, v[60:61]
	v_add_nc_u32_e32 v47, 0x1a00, v1
	v_add_co_u32 v54, s0, v54, v66
	ds_load_2addr_stride64_b32 v[60:61], v76 offset0:144 offset1:152
	v_add_co_ci_u32_e64 v55, s0, 0, v55, s0
	v_lshlrev_b32_e32 v66, 2, v47
	v_add_co_u32 v50, s0, s54, v50
	s_waitcnt lgkmcnt(1)
	v_lshrrev_b32_e32 v67, s64, v58
	v_add_co_ci_u32_e64 v51, s0, s55, v51, s0
	s_delay_alu instid0(VALU_DEP_3) | instskip(NEXT) | instid1(VALU_DEP_3)
	v_add_co_u32 v50, s0, v50, v66
	v_and_b32_e32 v66, s6, v67
	v_xor_b32_e32 v52, 0x80000000, v52
	v_lshrrev_b32_e32 v68, s64, v59
	v_add_co_ci_u32_e64 v51, s0, 0, v51, s0
	s_clause 0x1
	global_store_b32 v[56:57], v64, off
	global_store_b32 v[54:55], v65, off
	v_lshlrev_b32_e32 v64, 3, v66
	v_and_b32_e32 v54, s6, v68
	global_store_b32 v[50:51], v52, off
	v_xor_b32_e32 v66, 0x80000000, v53
	v_lshlrev_b64 v[52:53], 2, v[62:63]
	ds_load_b64 v[50:51], v64
	v_or_b32_e32 v65, 0x1c00, v1
	s_waitcnt lgkmcnt(1)
	v_lshrrev_b32_e32 v56, s64, v60
	v_lshrrev_b32_e32 v57, s64, v61
	v_lshlrev_b32_e32 v67, 3, v54
	v_add_co_u32 v52, s0, s54, v52
	v_lshlrev_b32_e32 v62, 2, v65
	v_and_b32_e32 v56, s6, v56
	ds_load_b64 v[54:55], v67
	v_add_co_ci_u32_e64 v53, s0, s55, v53, s0
	v_and_b32_e32 v57, s6, v57
	v_add_co_u32 v52, s0, v52, v62
	v_lshlrev_b32_e32 v68, 3, v56
	s_delay_alu instid0(VALU_DEP_4) | instskip(NEXT) | instid1(VALU_DEP_4)
	v_add_co_ci_u32_e64 v53, s0, 0, v53, s0
	v_lshlrev_b32_e32 v69, 3, v57
	ds_load_b64 v[56:57], v68
	ds_load_b64 v[62:63], v69
	global_store_b32 v[52:53], v66, off
	ds_load_2addr_stride64_b32 v[52:53], v76 offset0:160 offset1:168
	s_waitcnt lgkmcnt(4)
	v_lshlrev_b64 v[50:51], 2, v[50:51]
	v_xor_b32_e32 v66, 0x80000000, v58
	v_lshlrev_b32_e32 v58, 2, v70
	ds_load_b32 v76, v76 offset:45056
	v_xor_b32_e32 v60, 0x80000000, v60
	v_xor_b32_e32 v61, 0x80000000, v61
	v_add_co_u32 v71, s0, s54, v50
	s_delay_alu instid0(VALU_DEP_1) | instskip(SKIP_2) | instid1(VALU_DEP_3)
	v_add_co_ci_u32_e64 v72, s0, s55, v51, s0
	s_waitcnt lgkmcnt(4)
	v_lshlrev_b64 v[50:51], 2, v[54:55]
	v_add_co_u32 v54, s0, v71, v58
	v_or_b32_e32 v71, 0x2000, v1
	v_add_co_ci_u32_e64 v55, s0, 0, v72, s0
	s_delay_alu instid0(VALU_DEP_4) | instskip(NEXT) | instid1(VALU_DEP_3)
	v_add_co_u32 v58, s0, s54, v50
	v_lshlrev_b32_e32 v73, 2, v71
	v_xor_b32_e32 v72, 0x80000000, v59
	v_add_co_ci_u32_e64 v59, s0, s55, v51, s0
	s_waitcnt lgkmcnt(1)
	v_lshrrev_b32_e32 v75, s64, v52
	v_lshlrev_b64 v[50:51], 2, v[56:57]
	v_add_co_u32 v56, s0, v58, v73
	s_delay_alu instid0(VALU_DEP_1) | instskip(NEXT) | instid1(VALU_DEP_4)
	v_add_co_ci_u32_e64 v57, s0, 0, v59, s0
	v_and_b32_e32 v59, s6, v75
	v_lshlrev_b32_e32 v58, 2, v74
	v_add_co_u32 v50, s0, s54, v50
	v_lshrrev_b32_e32 v75, s64, v53
	v_add_co_ci_u32_e64 v51, s0, s55, v51, s0
	v_lshlrev_b32_e32 v73, 3, v59
	s_delay_alu instid0(VALU_DEP_4) | instskip(NEXT) | instid1(VALU_DEP_4)
	v_add_co_u32 v50, s0, v50, v58
	v_and_b32_e32 v75, s6, v75
	s_delay_alu instid0(VALU_DEP_4)
	v_add_co_ci_u32_e64 v51, s0, 0, v51, s0
	ds_load_b64 v[58:59], v73
	s_waitcnt lgkmcnt(1)
	v_lshrrev_b32_e32 v77, s64, v76
	s_clause 0x2
	global_store_b32 v[54:55], v66, off
	global_store_b32 v[56:57], v72, off
	;; [unrolled: 1-line block ×3, first 2 shown]
	v_lshlrev_b32_e32 v60, 3, v75
	v_lshlrev_b64 v[50:51], 2, v[62:63]
	v_or_b32_e32 v62, 0x2400, v1
	v_and_b32_e32 v56, s6, v77
	v_add_nc_u32_e32 v77, 0x2600, v1
	ds_load_b64 v[54:55], v60
	v_add_co_u32 v66, s0, s54, v50
	v_lshlrev_b32_e32 v63, 3, v56
	v_add_co_ci_u32_e64 v72, s0, s55, v51, s0
	v_lshlrev_b32_e32 v75, 2, v62
	ds_load_b64 v[50:51], v63
	s_waitcnt lgkmcnt(2)
	v_lshlrev_b64 v[56:57], 2, v[58:59]
	v_add_co_u32 v58, s0, v66, v75
	s_delay_alu instid0(VALU_DEP_1) | instskip(SKIP_3) | instid1(VALU_DEP_1)
	v_add_co_ci_u32_e64 v59, s0, 0, v72, s0
	v_xor_b32_e32 v66, 0x80000000, v52
	v_lshlrev_b32_e32 v52, 2, v77
	v_add_co_u32 v56, s0, s54, v56
	v_add_co_ci_u32_e64 v57, s0, s55, v57, s0
	s_waitcnt lgkmcnt(1)
	v_lshlrev_b64 v[54:55], 2, v[54:55]
	v_or_b32_e32 v72, 0x2800, v1
	v_add_co_u32 v56, s0, v56, v52
	s_delay_alu instid0(VALU_DEP_1) | instskip(SKIP_1) | instid1(VALU_DEP_4)
	v_add_co_ci_u32_e64 v57, s0, 0, v57, s0
	v_xor_b32_e32 v75, 0x80000000, v53
	v_lshlrev_b32_e32 v52, 2, v72
	v_add_co_u32 v53, s0, s54, v54
	s_delay_alu instid0(VALU_DEP_1) | instskip(SKIP_2) | instid1(VALU_DEP_3)
	v_add_co_ci_u32_e64 v54, s0, s55, v55, s0
	s_waitcnt lgkmcnt(0)
	v_lshlrev_b64 v[50:51], 2, v[50:51]
	v_add_co_u32 v52, s0, v53, v52
	s_delay_alu instid0(VALU_DEP_1) | instskip(SKIP_1) | instid1(VALU_DEP_4)
	v_add_co_ci_u32_e64 v53, s0, 0, v54, s0
	v_add_nc_u32_e32 v54, 0x2a00, v1
	v_add_co_u32 v50, s0, s54, v50
	v_xor_b32_e32 v55, 0x80000000, v76
	v_add_co_ci_u32_e64 v51, s0, s55, v51, s0
	s_delay_alu instid0(VALU_DEP_4) | instskip(SKIP_3) | instid1(VALU_DEP_1)
	v_lshlrev_b32_e32 v76, 2, v54
	s_add_u32 s0, s56, s50
	s_addc_u32 s1, s57, 0
	v_add_co_u32 v11, s0, s0, v11
	v_add_co_ci_u32_e64 v78, null, s1, 0, s0
	v_add_co_u32 v50, s0, v50, v76
	s_delay_alu instid0(VALU_DEP_1) | instskip(NEXT) | instid1(VALU_DEP_4)
	v_add_co_ci_u32_e64 v51, s0, 0, v51, s0
	v_add_co_u32 v11, s0, v11, v12
	s_delay_alu instid0(VALU_DEP_1)
	v_add_co_ci_u32_e64 v12, s0, 0, v78, s0
	s_clause 0x3
	global_store_b32 v[58:59], v61, off
	global_store_b32 v[56:57], v66, off
	;; [unrolled: 1-line block ×4, first 2 shown]
	s_clause 0x15
	global_load_u8 v50, v[11:12], off
	global_load_u8 v51, v[11:12], off offset:32
	global_load_u8 v52, v[11:12], off offset:64
	;; [unrolled: 1-line block ×21, first 2 shown]
	s_waitcnt vmcnt(0)
	s_waitcnt_vscnt null, 0x0
	s_barrier
	buffer_gl0_inv
	s_add_i32 s5, s5, -1
	ds_store_b8 v14, v50 offset:2048
	ds_store_b8 v15, v51 offset:2048
	;; [unrolled: 1-line block ×22, first 2 shown]
	s_waitcnt lgkmcnt(0)
	s_barrier
	buffer_gl0_inv
	ds_load_b64 v[11:12], v49
	ds_load_u8 v16, v1 offset:2048
	ds_load_b64 v[14:15], v37
	ds_load_b64 v[18:19], v48
	;; [unrolled: 1-line block ×3, first 2 shown]
	ds_load_u8 v20, v1 offset:2560
	ds_load_b64 v[26:27], v60
	ds_load_b64 v[28:29], v63
	s_cmp_eq_u32 s15, s5
	s_waitcnt lgkmcnt(7)
	v_add_co_u32 v11, s0, s58, v11
	s_delay_alu instid0(VALU_DEP_1) | instskip(NEXT) | instid1(VALU_DEP_2)
	v_add_co_ci_u32_e64 v12, s0, s59, v12, s0
	v_add_co_u32 v11, s0, v11, v1
	s_delay_alu instid0(VALU_DEP_1)
	v_add_co_ci_u32_e64 v12, s0, v12, v2, s0
	s_waitcnt lgkmcnt(6)
	global_store_b8 v[11:12], v16, off
	s_waitcnt lgkmcnt(5)
	v_add_co_u32 v11, s0, s58, v14
	ds_load_u8 v16, v1 offset:3072
	v_add_co_ci_u32_e64 v12, s0, s59, v15, s0
	v_add_co_u32 v11, s0, v11, v1
	s_delay_alu instid0(VALU_DEP_1) | instskip(SKIP_2) | instid1(VALU_DEP_1)
	v_add_co_ci_u32_e64 v12, s0, v12, v2, s0
	s_waitcnt lgkmcnt(5)
	v_add_co_u32 v14, s0, s58, v18
	v_add_co_ci_u32_e64 v15, s0, s59, v19, s0
	s_waitcnt lgkmcnt(3)
	global_store_b8 v[11:12], v20, off offset:512
	v_add_co_u32 v11, s0, v14, v1
	s_delay_alu instid0(VALU_DEP_1)
	v_add_co_ci_u32_e64 v12, s0, v15, v2, s0
	ds_load_b64 v[14:15], v6
	ds_load_u8 v20, v1 offset:3584
	ds_load_u8 v24, v1 offset:4096
	;; [unrolled: 1-line block ×7, first 2 shown]
	ds_load_b64 v[5:6], v5
	s_waitcnt lgkmcnt(9)
	global_store_b8 v[11:12], v16, off offset:1024
	ds_load_b64 v[11:12], v0
	v_add_co_u32 v0, s0, s58, v22
	s_delay_alu instid0(VALU_DEP_1) | instskip(SKIP_2) | instid1(VALU_DEP_1)
	v_add_co_ci_u32_e64 v16, s0, s59, v23, s0
	ds_load_b64 v[22:23], v7
	v_add_co_u32 v18, s0, v0, v1
	v_add_co_ci_u32_e64 v19, s0, v16, v2, s0
	s_waitcnt lgkmcnt(10)
	v_add_co_u32 v0, s0, s58, v14
	s_delay_alu instid0(VALU_DEP_1) | instskip(SKIP_3) | instid1(VALU_DEP_1)
	v_add_co_ci_u32_e64 v7, s0, s59, v15, s0
	s_waitcnt lgkmcnt(9)
	global_store_b8 v[18:19], v20, off offset:1536
	v_add_co_u32 v14, s0, v0, v1
	v_add_co_ci_u32_e64 v15, s0, v7, v2, s0
	s_waitcnt lgkmcnt(1)
	v_add_co_u32 v0, s0, s58, v11
	s_delay_alu instid0(VALU_DEP_1) | instskip(SKIP_2) | instid1(VALU_DEP_1)
	v_add_co_ci_u32_e64 v7, s0, s59, v12, s0
	ds_load_b64 v[10:11], v10
	v_add_co_u32 v12, s0, s58, v5
	v_add_co_ci_u32_e64 v16, s0, s59, v6, s0
	v_add_co_u32 v5, s0, v0, v1
	s_delay_alu instid0(VALU_DEP_1) | instskip(NEXT) | instid1(VALU_DEP_4)
	v_add_co_ci_u32_e64 v6, s0, v7, v2, s0
	v_add_co_u32 v18, s0, v12, v1
	s_delay_alu instid0(VALU_DEP_1) | instskip(SKIP_2) | instid1(VALU_DEP_1)
	v_add_co_ci_u32_e64 v19, s0, v16, v2, s0
	s_waitcnt lgkmcnt(1)
	v_add_co_u32 v0, s0, s58, v22
	v_add_co_ci_u32_e64 v12, s0, s59, v23, s0
	ds_load_b64 v[7:8], v8
	ds_load_b64 v[22:23], v9
	;; [unrolled: 1-line block ×3, first 2 shown]
	s_waitcnt lgkmcnt(3)
	v_add_co_u32 v16, s0, s58, v10
	s_delay_alu instid0(VALU_DEP_1) | instskip(SKIP_1) | instid1(VALU_DEP_1)
	v_add_co_ci_u32_e64 v20, s0, s59, v11, s0
	v_add_co_u32 v9, s0, v0, v1
	v_add_co_ci_u32_e64 v10, s0, v12, v2, s0
	s_delay_alu instid0(VALU_DEP_4) | instskip(NEXT) | instid1(VALU_DEP_1)
	v_add_co_u32 v11, s0, v16, v17
	v_add_co_ci_u32_e64 v12, s0, 0, v20, s0
	s_clause 0x4
	global_store_b8 v[14:15], v24, off offset:2048
	global_store_b8 v[5:6], v32, off offset:2560
	;; [unrolled: 1-line block ×4, first 2 shown]
	global_store_b8 v[11:12], v36, off
	ds_load_u8 v9, v1 offset:7168
	s_waitcnt lgkmcnt(3)
	v_add_co_u32 v0, s0, s58, v7
	s_delay_alu instid0(VALU_DEP_1) | instskip(NEXT) | instid1(VALU_DEP_2)
	v_add_co_ci_u32_e64 v6, s0, s59, v8, s0
	v_add_co_u32 v5, s0, v0, v21
	s_delay_alu instid0(VALU_DEP_1) | instskip(SKIP_2) | instid1(VALU_DEP_1)
	v_add_co_ci_u32_e64 v6, s0, 0, v6, s0
	s_waitcnt lgkmcnt(2)
	v_add_co_u32 v0, s0, s58, v22
	v_add_co_ci_u32_e64 v7, s0, s59, v23, s0
	global_store_b8 v[5:6], v37, off
	v_add_co_u32 v5, s0, v0, v25
	s_delay_alu instid0(VALU_DEP_1)
	v_add_co_ci_u32_e64 v6, s0, 0, v7, s0
	ds_load_b64 v[7:8], v44
	ds_load_u8 v0, v1 offset:7680
	ds_load_u8 v22, v1 offset:8192
	;; [unrolled: 1-line block ×7, first 2 shown]
	s_waitcnt lgkmcnt(9)
	v_add_co_u32 v11, s0, s58, v30
	s_waitcnt lgkmcnt(8)
	global_store_b8 v[5:6], v9, off
	ds_load_b64 v[5:6], v41
	ds_load_b64 v[14:15], v64
	v_add_co_ci_u32_e64 v12, s0, s59, v31, s0
	ds_load_b64 v[9:10], v33
	v_add_co_u32 v11, s0, v11, v43
	s_delay_alu instid0(VALU_DEP_1) | instskip(SKIP_2) | instid1(VALU_DEP_1)
	v_add_co_ci_u32_e64 v12, s0, 0, v12, s0
	s_waitcnt lgkmcnt(10)
	v_add_co_u32 v7, s0, s58, v7
	v_add_co_ci_u32_e64 v8, s0, s59, v8, s0
	s_waitcnt lgkmcnt(9)
	global_store_b8 v[11:12], v0, off
	v_add_co_u32 v7, s0, v7, v46
	s_delay_alu instid0(VALU_DEP_1) | instskip(SKIP_2) | instid1(VALU_DEP_1)
	v_add_co_ci_u32_e64 v8, s0, 0, v8, s0
	s_waitcnt lgkmcnt(2)
	v_add_co_u32 v0, s0, s58, v5
	v_add_co_ci_u32_e64 v11, s0, s59, v6, s0
	ds_load_b64 v[5:6], v67
	s_waitcnt lgkmcnt(1)
	v_add_co_u32 v12, s0, s58, v9
	s_delay_alu instid0(VALU_DEP_1) | instskip(SKIP_1) | instid1(VALU_DEP_1)
	v_add_co_ci_u32_e64 v16, s0, s59, v10, s0
	v_add_co_u32 v9, s0, v0, v47
	v_add_co_ci_u32_e64 v10, s0, 0, v11, s0
	s_delay_alu instid0(VALU_DEP_4) | instskip(NEXT) | instid1(VALU_DEP_1)
	v_add_co_u32 v11, s0, v12, v65
	v_add_co_ci_u32_e64 v12, s0, 0, v16, s0
	v_add_co_u32 v0, s0, s58, v14
	s_delay_alu instid0(VALU_DEP_1)
	v_add_co_ci_u32_e64 v20, s0, s59, v15, s0
	ds_load_b64 v[14:15], v68
	ds_load_b64 v[16:17], v69
	;; [unrolled: 1-line block ×3, first 2 shown]
	s_waitcnt lgkmcnt(3)
	v_add_co_u32 v21, s0, s58, v5
	s_delay_alu instid0(VALU_DEP_1) | instskip(SKIP_1) | instid1(VALU_DEP_1)
	v_add_co_ci_u32_e64 v30, s0, s59, v6, s0
	v_add_co_u32 v5, s0, v0, v70
	v_add_co_ci_u32_e64 v6, s0, 0, v20, s0
	s_delay_alu instid0(VALU_DEP_4) | instskip(NEXT) | instid1(VALU_DEP_1)
	v_add_co_u32 v20, s0, v21, v71
	v_add_co_ci_u32_e64 v21, s0, 0, v30, s0
	s_clause 0x4
	global_store_b8 v[7:8], v22, off
	global_store_b8 v[9:10], v23, off
	;; [unrolled: 1-line block ×5, first 2 shown]
	ds_load_u8 v0, v1 offset:11264
	s_waitcnt lgkmcnt(3)
	v_add_co_u32 v5, s0, s58, v14
	s_delay_alu instid0(VALU_DEP_1) | instskip(SKIP_2) | instid1(VALU_DEP_1)
	v_add_co_ci_u32_e64 v6, s0, s59, v15, s0
	s_waitcnt lgkmcnt(2)
	v_add_co_u32 v7, s0, s58, v16
	v_add_co_ci_u32_e64 v8, s0, s59, v17, s0
	v_add_co_u32 v5, s0, v5, v74
	s_delay_alu instid0(VALU_DEP_1) | instskip(NEXT) | instid1(VALU_DEP_4)
	v_add_co_ci_u32_e64 v6, s0, 0, v6, s0
	v_add_co_u32 v7, s0, v7, v62
	s_delay_alu instid0(VALU_DEP_1)
	v_add_co_ci_u32_e64 v8, s0, 0, v8, s0
	global_store_b8 v[5:6], v34, off
	ds_load_u8 v11, v1 offset:11776
	ds_load_u8 v12, v1 offset:12288
	;; [unrolled: 1-line block ×3, first 2 shown]
	s_waitcnt lgkmcnt(3)
	global_store_b8 v[7:8], v0, off
	v_add_co_u32 v0, s0, s58, v18
	s_delay_alu instid0(VALU_DEP_1) | instskip(SKIP_1) | instid1(VALU_DEP_1)
	v_add_co_ci_u32_e64 v6, s0, s59, v19, s0
	v_add_co_u32 v7, s0, s58, v26
	v_add_co_ci_u32_e64 v8, s0, s59, v27, s0
	s_delay_alu instid0(VALU_DEP_4) | instskip(NEXT) | instid1(VALU_DEP_1)
	v_add_co_u32 v5, s0, v0, v77
	v_add_co_ci_u32_e64 v6, s0, 0, v6, s0
	s_delay_alu instid0(VALU_DEP_4) | instskip(NEXT) | instid1(VALU_DEP_1)
	v_add_co_u32 v7, s0, v7, v72
	v_add_co_ci_u32_e64 v8, s0, 0, v8, s0
	v_add_co_u32 v0, s0, s58, v28
	s_delay_alu instid0(VALU_DEP_1) | instskip(SKIP_3) | instid1(VALU_DEP_1)
	v_add_co_ci_u32_e64 v10, s0, s59, v29, s0
	s_waitcnt lgkmcnt(2)
	global_store_b8 v[5:6], v11, off
	v_add_co_u32 v9, s0, v0, v54
	v_add_co_ci_u32_e64 v10, s0, 0, v10, s0
	s_cselect_b32 s0, -1, 0
	s_waitcnt lgkmcnt(1)
	global_store_b8 v[7:8], v12, off
	s_and_b32 s1, vcc_lo, s0
	s_waitcnt lgkmcnt(0)
	global_store_b8 v[9:10], v14, off
                                        ; implicit-def: $vgpr5_vgpr6
	s_and_saveexec_b32 s0, s1
; %bb.292:
	v_add_co_u32 v5, vcc_lo, v3, v13
	v_add_co_ci_u32_e32 v6, vcc_lo, 0, v4, vcc_lo
	s_or_b32 s4, s4, exec_lo
; %bb.293:
	s_or_b32 exec_lo, exec_lo, s0
.LBB24_294:
	s_and_saveexec_b32 s0, s4
	s_cbranch_execnz .LBB24_296
; %bb.295:
	s_nop 0
	s_sendmsg sendmsg(MSG_DEALLOC_VGPRS)
	s_endpgm
.LBB24_296:
	v_lshlrev_b32_e32 v0, 3, v1
	ds_load_b64 v[3:4], v0
	v_lshlrev_b64 v[0:1], 3, v[1:2]
	s_delay_alu instid0(VALU_DEP_1) | instskip(NEXT) | instid1(VALU_DEP_2)
	v_add_co_u32 v0, vcc_lo, s62, v0
	v_add_co_ci_u32_e32 v1, vcc_lo, s63, v1, vcc_lo
	s_waitcnt lgkmcnt(0)
	v_add_co_u32 v2, vcc_lo, v3, v5
	v_add_co_ci_u32_e32 v3, vcc_lo, v4, v6, vcc_lo
	global_store_b64 v[0:1], v[2:3], off
	s_nop 0
	s_sendmsg sendmsg(MSG_DEALLOC_VGPRS)
	s_endpgm
.LBB24_297:
	global_load_u8 v10, v[2:3], off
	s_or_b32 exec_lo, exec_lo, s48
                                        ; implicit-def: $vgpr45
	s_and_saveexec_b32 s48, s2
	s_cbranch_execz .LBB24_155
.LBB24_298:
	global_load_u8 v45, v[2:3], off offset:32
	s_or_b32 exec_lo, exec_lo, s48
                                        ; implicit-def: $vgpr46
	s_and_saveexec_b32 s2, s3
	s_cbranch_execz .LBB24_156
.LBB24_299:
	global_load_u8 v46, v[2:3], off offset:64
	s_or_b32 exec_lo, exec_lo, s2
                                        ; implicit-def: $vgpr47
	s_and_saveexec_b32 s2, s4
	s_cbranch_execz .LBB24_157
.LBB24_300:
	global_load_u8 v47, v[2:3], off offset:96
	s_or_b32 exec_lo, exec_lo, s2
                                        ; implicit-def: $vgpr48
	s_and_saveexec_b32 s2, s5
	s_cbranch_execz .LBB24_158
.LBB24_301:
	global_load_u8 v48, v[2:3], off offset:128
	s_or_b32 exec_lo, exec_lo, s2
                                        ; implicit-def: $vgpr49
	s_and_saveexec_b32 s2, s6
	s_cbranch_execz .LBB24_159
.LBB24_302:
	global_load_u8 v49, v[2:3], off offset:160
	s_or_b32 exec_lo, exec_lo, s2
                                        ; implicit-def: $vgpr50
	s_and_saveexec_b32 s2, s7
	s_cbranch_execz .LBB24_160
.LBB24_303:
	global_load_u8 v50, v[2:3], off offset:192
	s_or_b32 exec_lo, exec_lo, s2
                                        ; implicit-def: $vgpr51
	s_and_saveexec_b32 s2, s8
	s_cbranch_execz .LBB24_161
.LBB24_304:
	global_load_u8 v51, v[2:3], off offset:224
	s_or_b32 exec_lo, exec_lo, s2
                                        ; implicit-def: $vgpr52
	s_and_saveexec_b32 s2, s9
	s_cbranch_execz .LBB24_162
.LBB24_305:
	global_load_u8 v52, v[2:3], off offset:256
	s_or_b32 exec_lo, exec_lo, s2
                                        ; implicit-def: $vgpr53
	s_and_saveexec_b32 s2, s10
	s_cbranch_execz .LBB24_163
.LBB24_306:
	global_load_u8 v53, v[2:3], off offset:288
	s_or_b32 exec_lo, exec_lo, s2
                                        ; implicit-def: $vgpr54
	s_and_saveexec_b32 s2, s11
	s_cbranch_execz .LBB24_164
.LBB24_307:
	global_load_u8 v54, v[2:3], off offset:320
	s_or_b32 exec_lo, exec_lo, s2
                                        ; implicit-def: $vgpr55
	s_and_saveexec_b32 s2, s12
	s_cbranch_execz .LBB24_165
.LBB24_308:
	global_load_u8 v55, v[2:3], off offset:352
	s_or_b32 exec_lo, exec_lo, s2
                                        ; implicit-def: $vgpr56
	s_and_saveexec_b32 s2, s13
	s_cbranch_execz .LBB24_166
.LBB24_309:
	global_load_u8 v56, v[2:3], off offset:384
	s_or_b32 exec_lo, exec_lo, s2
                                        ; implicit-def: $vgpr58
	s_and_saveexec_b32 s2, s14
	s_cbranch_execz .LBB24_167
.LBB24_310:
	global_load_u8 v58, v[2:3], off offset:416
	s_or_b32 exec_lo, exec_lo, s2
                                        ; implicit-def: $vgpr61
	s_and_saveexec_b32 s2, s16
	s_cbranch_execz .LBB24_168
.LBB24_311:
	global_load_u8 v61, v[2:3], off offset:448
	s_or_b32 exec_lo, exec_lo, s2
                                        ; implicit-def: $vgpr65
	s_and_saveexec_b32 s2, s17
	s_cbranch_execz .LBB24_169
.LBB24_312:
	global_load_u8 v65, v[2:3], off offset:480
	s_or_b32 exec_lo, exec_lo, s2
                                        ; implicit-def: $vgpr68
	s_and_saveexec_b32 s2, s18
	s_cbranch_execz .LBB24_170
.LBB24_313:
	global_load_u8 v68, v[2:3], off offset:512
	s_or_b32 exec_lo, exec_lo, s2
                                        ; implicit-def: $vgpr71
	s_and_saveexec_b32 s2, s19
	s_cbranch_execz .LBB24_171
.LBB24_314:
	global_load_u8 v71, v[2:3], off offset:544
	s_or_b32 exec_lo, exec_lo, s2
                                        ; implicit-def: $vgpr74
	s_and_saveexec_b32 s2, s20
	s_cbranch_execz .LBB24_172
.LBB24_315:
	global_load_u8 v74, v[2:3], off offset:576
	s_or_b32 exec_lo, exec_lo, s2
                                        ; implicit-def: $vgpr77
	s_and_saveexec_b32 s2, s21
	s_cbranch_execz .LBB24_173
.LBB24_316:
	global_load_u8 v77, v[2:3], off offset:608
	s_or_b32 exec_lo, exec_lo, s2
                                        ; implicit-def: $vgpr81
	s_and_saveexec_b32 s2, s22
	s_cbranch_execz .LBB24_174
.LBB24_317:
	global_load_u8 v81, v[2:3], off offset:640
	s_or_b32 exec_lo, exec_lo, s2
                                        ; implicit-def: $vgpr84
	s_and_saveexec_b32 s2, s23
	s_cbranch_execz .LBB24_175
.LBB24_318:
	global_load_u8 v84, v[2:3], off offset:672
	s_or_b32 exec_lo, exec_lo, s2
                                        ; implicit-def: $vgpr85
	s_and_saveexec_b32 s2, s25
	s_cbranch_execz .LBB24_176
.LBB24_319:
	ds_load_b32 v2, v12 offset:2048
	s_waitcnt lgkmcnt(0)
	v_lshrrev_b32_e32 v2, s64, v2
	s_delay_alu instid0(VALU_DEP_1)
	v_and_b32_e32 v85, s51, v2
	s_or_b32 exec_lo, exec_lo, s2
                                        ; implicit-def: $vgpr83
	s_and_saveexec_b32 s2, s26
	s_cbranch_execz .LBB24_177
.LBB24_320:
	ds_load_b32 v2, v12 offset:4096
	s_waitcnt lgkmcnt(0)
	v_lshrrev_b32_e32 v2, s64, v2
	s_delay_alu instid0(VALU_DEP_1)
	v_and_b32_e32 v83, s51, v2
	s_or_b32 exec_lo, exec_lo, s2
                                        ; implicit-def: $vgpr82
	s_and_saveexec_b32 s2, s27
	s_cbranch_execz .LBB24_178
.LBB24_321:
	ds_load_b32 v2, v12 offset:6144
	s_waitcnt lgkmcnt(0)
	v_lshrrev_b32_e32 v2, s64, v2
	s_delay_alu instid0(VALU_DEP_1)
	v_and_b32_e32 v82, s51, v2
	s_or_b32 exec_lo, exec_lo, s2
                                        ; implicit-def: $vgpr80
	s_and_saveexec_b32 s2, s28
	s_cbranch_execz .LBB24_179
.LBB24_322:
	ds_load_b32 v2, v12 offset:8192
	s_waitcnt lgkmcnt(0)
	v_lshrrev_b32_e32 v2, s64, v2
	s_delay_alu instid0(VALU_DEP_1)
	v_and_b32_e32 v80, s51, v2
	s_or_b32 exec_lo, exec_lo, s2
                                        ; implicit-def: $vgpr79
	s_and_saveexec_b32 s2, s29
	s_cbranch_execz .LBB24_180
.LBB24_323:
	ds_load_b32 v2, v12 offset:10240
	s_waitcnt lgkmcnt(0)
	v_lshrrev_b32_e32 v2, s64, v2
	s_delay_alu instid0(VALU_DEP_1)
	v_and_b32_e32 v79, s51, v2
	s_or_b32 exec_lo, exec_lo, s2
                                        ; implicit-def: $vgpr78
	s_and_saveexec_b32 s2, s30
	s_cbranch_execz .LBB24_181
.LBB24_324:
	ds_load_b32 v2, v12 offset:12288
	s_waitcnt lgkmcnt(0)
	v_lshrrev_b32_e32 v2, s64, v2
	s_delay_alu instid0(VALU_DEP_1)
	v_and_b32_e32 v78, s51, v2
	s_or_b32 exec_lo, exec_lo, s2
                                        ; implicit-def: $vgpr76
	s_and_saveexec_b32 s2, s31
	s_cbranch_execz .LBB24_182
.LBB24_325:
	ds_load_b32 v2, v12 offset:14336
	s_waitcnt lgkmcnt(0)
	v_lshrrev_b32_e32 v2, s64, v2
	s_delay_alu instid0(VALU_DEP_1)
	v_and_b32_e32 v76, s51, v2
	s_or_b32 exec_lo, exec_lo, s2
                                        ; implicit-def: $vgpr75
	s_and_saveexec_b32 s2, s33
	s_cbranch_execz .LBB24_183
.LBB24_326:
	ds_load_b32 v2, v12 offset:16384
	s_waitcnt lgkmcnt(0)
	v_lshrrev_b32_e32 v2, s64, v2
	s_delay_alu instid0(VALU_DEP_1)
	v_and_b32_e32 v75, s51, v2
	s_or_b32 exec_lo, exec_lo, s2
                                        ; implicit-def: $vgpr73
	s_and_saveexec_b32 s2, s34
	s_cbranch_execz .LBB24_184
.LBB24_327:
	ds_load_b32 v2, v12 offset:18432
	s_waitcnt lgkmcnt(0)
	v_lshrrev_b32_e32 v2, s64, v2
	s_delay_alu instid0(VALU_DEP_1)
	v_and_b32_e32 v73, s51, v2
	s_or_b32 exec_lo, exec_lo, s2
                                        ; implicit-def: $vgpr72
	s_and_saveexec_b32 s2, s35
	s_cbranch_execz .LBB24_185
.LBB24_328:
	ds_load_b32 v2, v12 offset:20480
	s_waitcnt lgkmcnt(0)
	v_lshrrev_b32_e32 v2, s64, v2
	s_delay_alu instid0(VALU_DEP_1)
	v_and_b32_e32 v72, s51, v2
	s_or_b32 exec_lo, exec_lo, s2
                                        ; implicit-def: $vgpr70
	s_and_saveexec_b32 s2, s36
	s_cbranch_execz .LBB24_186
.LBB24_329:
	ds_load_b32 v2, v12 offset:22528
	s_waitcnt lgkmcnt(0)
	v_lshrrev_b32_e32 v2, s64, v2
	s_delay_alu instid0(VALU_DEP_1)
	v_and_b32_e32 v70, s51, v2
	s_or_b32 exec_lo, exec_lo, s2
                                        ; implicit-def: $vgpr69
	s_and_saveexec_b32 s2, s37
	s_cbranch_execz .LBB24_187
.LBB24_330:
	ds_load_b32 v2, v12 offset:24576
	s_waitcnt lgkmcnt(0)
	v_lshrrev_b32_e32 v2, s64, v2
	s_delay_alu instid0(VALU_DEP_1)
	v_and_b32_e32 v69, s51, v2
	s_or_b32 exec_lo, exec_lo, s2
                                        ; implicit-def: $vgpr67
	s_and_saveexec_b32 s2, s38
	s_cbranch_execz .LBB24_188
.LBB24_331:
	ds_load_b32 v2, v12 offset:26624
	s_waitcnt lgkmcnt(0)
	v_lshrrev_b32_e32 v2, s64, v2
	s_delay_alu instid0(VALU_DEP_1)
	v_and_b32_e32 v67, s51, v2
	s_or_b32 exec_lo, exec_lo, s2
                                        ; implicit-def: $vgpr66
	s_and_saveexec_b32 s2, s39
	s_cbranch_execz .LBB24_189
.LBB24_332:
	ds_load_b32 v2, v12 offset:28672
	s_waitcnt lgkmcnt(0)
	v_lshrrev_b32_e32 v2, s64, v2
	s_delay_alu instid0(VALU_DEP_1)
	v_and_b32_e32 v66, s51, v2
	s_or_b32 exec_lo, exec_lo, s2
                                        ; implicit-def: $vgpr64
	s_and_saveexec_b32 s2, s40
	s_cbranch_execz .LBB24_190
.LBB24_333:
	ds_load_b32 v2, v12 offset:30720
	s_waitcnt lgkmcnt(0)
	v_lshrrev_b32_e32 v2, s64, v2
	s_delay_alu instid0(VALU_DEP_1)
	v_and_b32_e32 v64, s51, v2
	s_or_b32 exec_lo, exec_lo, s2
                                        ; implicit-def: $vgpr63
	s_and_saveexec_b32 s2, s41
	s_cbranch_execz .LBB24_191
.LBB24_334:
	ds_load_b32 v2, v12 offset:32768
	s_waitcnt lgkmcnt(0)
	v_lshrrev_b32_e32 v2, s64, v2
	s_delay_alu instid0(VALU_DEP_1)
	v_and_b32_e32 v63, s51, v2
	s_or_b32 exec_lo, exec_lo, s2
                                        ; implicit-def: $vgpr62
	s_and_saveexec_b32 s2, s42
	s_cbranch_execz .LBB24_192
.LBB24_335:
	ds_load_b32 v2, v12 offset:34816
	s_waitcnt lgkmcnt(0)
	v_lshrrev_b32_e32 v2, s64, v2
	s_delay_alu instid0(VALU_DEP_1)
	v_and_b32_e32 v62, s51, v2
	s_or_b32 exec_lo, exec_lo, s2
                                        ; implicit-def: $vgpr60
	s_and_saveexec_b32 s2, s43
	s_cbranch_execz .LBB24_193
.LBB24_336:
	ds_load_b32 v2, v12 offset:36864
	s_waitcnt lgkmcnt(0)
	v_lshrrev_b32_e32 v2, s64, v2
	s_delay_alu instid0(VALU_DEP_1)
	v_and_b32_e32 v60, s51, v2
	s_or_b32 exec_lo, exec_lo, s2
                                        ; implicit-def: $vgpr59
	s_and_saveexec_b32 s2, s44
	s_cbranch_execz .LBB24_194
.LBB24_337:
	ds_load_b32 v2, v12 offset:38912
	s_waitcnt lgkmcnt(0)
	v_lshrrev_b32_e32 v2, s64, v2
	s_delay_alu instid0(VALU_DEP_1)
	v_and_b32_e32 v59, s51, v2
	s_or_b32 exec_lo, exec_lo, s2
                                        ; implicit-def: $vgpr57
	s_and_saveexec_b32 s2, s45
	s_cbranch_execz .LBB24_195
.LBB24_338:
	ds_load_b32 v2, v12 offset:40960
	s_waitcnt lgkmcnt(0)
	v_lshrrev_b32_e32 v2, s64, v2
	s_delay_alu instid0(VALU_DEP_1)
	v_and_b32_e32 v57, s51, v2
	s_or_b32 exec_lo, exec_lo, s2
                                        ; implicit-def: $vgpr3
	s_and_saveexec_b32 s2, s46
	s_cbranch_execz .LBB24_196
.LBB24_339:
	ds_load_b32 v2, v12 offset:43008
	s_waitcnt lgkmcnt(0)
	v_lshrrev_b32_e32 v2, s64, v2
	s_delay_alu instid0(VALU_DEP_1)
	v_and_b32_e32 v3, s51, v2
	s_or_b32 exec_lo, exec_lo, s2
                                        ; implicit-def: $vgpr2
	s_and_saveexec_b32 s2, s47
	s_cbranch_execnz .LBB24_197
	s_branch .LBB24_198
.LBB24_340:
	v_lshlrev_b32_e32 v10, 3, v85
	ds_load_b64 v[15:16], v10
	ds_load_u8 v10, v1 offset:2048
	s_waitcnt lgkmcnt(1)
	v_add_co_u32 v12, vcc_lo, s58, v15
	v_add_co_ci_u32_e32 v16, vcc_lo, s59, v16, vcc_lo
	s_delay_alu instid0(VALU_DEP_2) | instskip(NEXT) | instid1(VALU_DEP_2)
	v_add_co_u32 v15, vcc_lo, v12, v1
	v_add_co_ci_u32_e32 v16, vcc_lo, 0, v16, vcc_lo
	s_waitcnt lgkmcnt(0)
	global_store_b8 v[15:16], v10, off
	s_or_b32 exec_lo, exec_lo, s2
	s_and_saveexec_b32 s2, s26
	s_cbranch_execz .LBB24_200
.LBB24_341:
	v_lshlrev_b32_e32 v10, 3, v83
	ds_load_b64 v[15:16], v10
	ds_load_u8 v10, v1 offset:2560
	s_waitcnt lgkmcnt(1)
	v_add_co_u32 v12, vcc_lo, s58, v15
	v_add_co_ci_u32_e32 v16, vcc_lo, s59, v16, vcc_lo
	s_delay_alu instid0(VALU_DEP_2) | instskip(NEXT) | instid1(VALU_DEP_2)
	v_add_co_u32 v15, vcc_lo, v12, v1
	v_add_co_ci_u32_e32 v16, vcc_lo, 0, v16, vcc_lo
	s_waitcnt lgkmcnt(0)
	global_store_b8 v[15:16], v10, off offset:512
	s_or_b32 exec_lo, exec_lo, s2
	s_and_saveexec_b32 s2, s27
	s_cbranch_execz .LBB24_201
.LBB24_342:
	v_lshlrev_b32_e32 v10, 3, v82
	ds_load_b64 v[15:16], v10
	ds_load_u8 v10, v1 offset:3072
	s_waitcnt lgkmcnt(1)
	v_add_co_u32 v12, vcc_lo, s58, v15
	v_add_co_ci_u32_e32 v16, vcc_lo, s59, v16, vcc_lo
	s_delay_alu instid0(VALU_DEP_2) | instskip(NEXT) | instid1(VALU_DEP_2)
	v_add_co_u32 v15, vcc_lo, v12, v1
	v_add_co_ci_u32_e32 v16, vcc_lo, 0, v16, vcc_lo
	s_waitcnt lgkmcnt(0)
	global_store_b8 v[15:16], v10, off offset:1024
	s_or_b32 exec_lo, exec_lo, s2
	s_and_saveexec_b32 s2, s28
	s_cbranch_execz .LBB24_202
.LBB24_343:
	v_lshlrev_b32_e32 v10, 3, v80
	ds_load_b64 v[15:16], v10
	ds_load_u8 v10, v1 offset:3584
	s_waitcnt lgkmcnt(1)
	v_add_co_u32 v12, vcc_lo, s58, v15
	v_add_co_ci_u32_e32 v16, vcc_lo, s59, v16, vcc_lo
	s_delay_alu instid0(VALU_DEP_2) | instskip(NEXT) | instid1(VALU_DEP_2)
	v_add_co_u32 v15, vcc_lo, v12, v1
	v_add_co_ci_u32_e32 v16, vcc_lo, 0, v16, vcc_lo
	s_waitcnt lgkmcnt(0)
	global_store_b8 v[15:16], v10, off offset:1536
	s_or_b32 exec_lo, exec_lo, s2
	s_and_saveexec_b32 s2, s29
	s_cbranch_execz .LBB24_203
.LBB24_344:
	v_lshlrev_b32_e32 v10, 3, v79
	ds_load_b64 v[15:16], v10
	ds_load_u8 v10, v1 offset:4096
	s_waitcnt lgkmcnt(1)
	v_add_co_u32 v12, vcc_lo, s58, v15
	v_add_co_ci_u32_e32 v16, vcc_lo, s59, v16, vcc_lo
	s_delay_alu instid0(VALU_DEP_2) | instskip(NEXT) | instid1(VALU_DEP_2)
	v_add_co_u32 v15, vcc_lo, v12, v1
	v_add_co_ci_u32_e32 v16, vcc_lo, 0, v16, vcc_lo
	s_waitcnt lgkmcnt(0)
	global_store_b8 v[15:16], v10, off offset:2048
	s_or_b32 exec_lo, exec_lo, s2
	s_and_saveexec_b32 s2, s30
	s_cbranch_execz .LBB24_204
.LBB24_345:
	v_lshlrev_b32_e32 v10, 3, v78
	ds_load_b64 v[15:16], v10
	ds_load_u8 v10, v1 offset:4608
	s_waitcnt lgkmcnt(1)
	v_add_co_u32 v12, vcc_lo, s58, v15
	v_add_co_ci_u32_e32 v16, vcc_lo, s59, v16, vcc_lo
	s_delay_alu instid0(VALU_DEP_2) | instskip(NEXT) | instid1(VALU_DEP_2)
	v_add_co_u32 v15, vcc_lo, v12, v1
	v_add_co_ci_u32_e32 v16, vcc_lo, 0, v16, vcc_lo
	s_waitcnt lgkmcnt(0)
	global_store_b8 v[15:16], v10, off offset:2560
	s_or_b32 exec_lo, exec_lo, s2
	s_and_saveexec_b32 s2, s31
	s_cbranch_execz .LBB24_205
.LBB24_346:
	v_lshlrev_b32_e32 v10, 3, v76
	ds_load_b64 v[15:16], v10
	ds_load_u8 v10, v1 offset:5120
	s_waitcnt lgkmcnt(1)
	v_add_co_u32 v12, vcc_lo, s58, v15
	v_add_co_ci_u32_e32 v16, vcc_lo, s59, v16, vcc_lo
	s_delay_alu instid0(VALU_DEP_2) | instskip(NEXT) | instid1(VALU_DEP_2)
	v_add_co_u32 v15, vcc_lo, v12, v1
	v_add_co_ci_u32_e32 v16, vcc_lo, 0, v16, vcc_lo
	s_waitcnt lgkmcnt(0)
	global_store_b8 v[15:16], v10, off offset:3072
	s_or_b32 exec_lo, exec_lo, s2
	s_and_saveexec_b32 s2, s33
	s_cbranch_execz .LBB24_206
.LBB24_347:
	v_lshlrev_b32_e32 v10, 3, v75
	ds_load_b64 v[15:16], v10
	ds_load_u8 v10, v1 offset:5632
	s_waitcnt lgkmcnt(1)
	v_add_co_u32 v12, vcc_lo, s58, v15
	v_add_co_ci_u32_e32 v16, vcc_lo, s59, v16, vcc_lo
	s_delay_alu instid0(VALU_DEP_2) | instskip(NEXT) | instid1(VALU_DEP_2)
	v_add_co_u32 v15, vcc_lo, v12, v1
	v_add_co_ci_u32_e32 v16, vcc_lo, 0, v16, vcc_lo
	s_waitcnt lgkmcnt(0)
	global_store_b8 v[15:16], v10, off offset:3584
	s_or_b32 exec_lo, exec_lo, s2
	s_and_saveexec_b32 s2, s34
	s_cbranch_execz .LBB24_207
.LBB24_348:
	v_lshlrev_b32_e32 v10, 3, v73
	ds_load_b64 v[15:16], v10
	ds_load_u8 v10, v1 offset:6144
	s_waitcnt lgkmcnt(1)
	v_add_co_u32 v12, vcc_lo, s58, v15
	v_add_co_ci_u32_e32 v16, vcc_lo, s59, v16, vcc_lo
	s_delay_alu instid0(VALU_DEP_2) | instskip(NEXT) | instid1(VALU_DEP_2)
	v_add_co_u32 v15, vcc_lo, v12, v4
	v_add_co_ci_u32_e32 v16, vcc_lo, 0, v16, vcc_lo
	s_waitcnt lgkmcnt(0)
	global_store_b8 v[15:16], v10, off
	s_or_b32 exec_lo, exec_lo, s2
	s_and_saveexec_b32 s2, s35
	s_cbranch_execz .LBB24_208
.LBB24_349:
	v_lshlrev_b32_e32 v4, 3, v72
	ds_load_b64 v[15:16], v4
	ds_load_u8 v10, v1 offset:6656
	s_waitcnt lgkmcnt(1)
	v_add_co_u32 v4, vcc_lo, s58, v15
	v_add_co_ci_u32_e32 v12, vcc_lo, s59, v16, vcc_lo
	s_delay_alu instid0(VALU_DEP_2) | instskip(NEXT) | instid1(VALU_DEP_2)
	v_add_co_u32 v4, vcc_lo, v4, v5
	v_add_co_ci_u32_e32 v5, vcc_lo, 0, v12, vcc_lo
	s_waitcnt lgkmcnt(0)
	global_store_b8 v[4:5], v10, off
	s_or_b32 exec_lo, exec_lo, s2
	s_and_saveexec_b32 s2, s36
	s_cbranch_execz .LBB24_209
.LBB24_350:
	v_lshlrev_b32_e32 v4, 3, v70
	ds_load_b64 v[4:5], v4
	ds_load_u8 v10, v1 offset:7168
	s_waitcnt lgkmcnt(1)
	v_add_co_u32 v4, vcc_lo, s58, v4
	v_add_co_ci_u32_e32 v5, vcc_lo, s59, v5, vcc_lo
	s_delay_alu instid0(VALU_DEP_2) | instskip(NEXT) | instid1(VALU_DEP_2)
	v_add_co_u32 v4, vcc_lo, v4, v6
	v_add_co_ci_u32_e32 v5, vcc_lo, 0, v5, vcc_lo
	s_waitcnt lgkmcnt(0)
	global_store_b8 v[4:5], v10, off
	s_or_b32 exec_lo, exec_lo, s2
	s_and_saveexec_b32 s2, s37
	s_cbranch_execz .LBB24_210
.LBB24_351:
	v_lshlrev_b32_e32 v4, 3, v69
	ds_load_b64 v[4:5], v4
	ds_load_u8 v6, v1 offset:7680
	s_waitcnt lgkmcnt(1)
	v_add_co_u32 v4, vcc_lo, s58, v4
	v_add_co_ci_u32_e32 v5, vcc_lo, s59, v5, vcc_lo
	s_delay_alu instid0(VALU_DEP_2) | instskip(NEXT) | instid1(VALU_DEP_2)
	v_add_co_u32 v4, vcc_lo, v4, v7
	v_add_co_ci_u32_e32 v5, vcc_lo, 0, v5, vcc_lo
	s_waitcnt lgkmcnt(0)
	global_store_b8 v[4:5], v6, off
	s_or_b32 exec_lo, exec_lo, s2
	s_and_saveexec_b32 s2, s38
	s_cbranch_execz .LBB24_211
.LBB24_352:
	v_lshlrev_b32_e32 v4, 3, v67
	ds_load_b64 v[4:5], v4
	ds_load_u8 v6, v1 offset:8192
	s_waitcnt lgkmcnt(1)
	v_add_co_u32 v4, vcc_lo, s58, v4
	v_add_co_ci_u32_e32 v5, vcc_lo, s59, v5, vcc_lo
	s_delay_alu instid0(VALU_DEP_2) | instskip(NEXT) | instid1(VALU_DEP_2)
	v_add_co_u32 v4, vcc_lo, v4, v13
	v_add_co_ci_u32_e32 v5, vcc_lo, 0, v5, vcc_lo
	s_waitcnt lgkmcnt(0)
	global_store_b8 v[4:5], v6, off
	s_or_b32 exec_lo, exec_lo, s2
	s_and_saveexec_b32 s2, s39
	s_cbranch_execz .LBB24_212
.LBB24_353:
	v_lshlrev_b32_e32 v4, 3, v66
	ds_load_b64 v[4:5], v4
	ds_load_u8 v6, v1 offset:8704
	s_waitcnt lgkmcnt(1)
	v_add_co_u32 v4, vcc_lo, s58, v4
	v_add_co_ci_u32_e32 v5, vcc_lo, s59, v5, vcc_lo
	s_delay_alu instid0(VALU_DEP_2) | instskip(NEXT) | instid1(VALU_DEP_2)
	v_add_co_u32 v4, vcc_lo, v4, v14
	v_add_co_ci_u32_e32 v5, vcc_lo, 0, v5, vcc_lo
	s_waitcnt lgkmcnt(0)
	global_store_b8 v[4:5], v6, off
	s_or_b32 exec_lo, exec_lo, s2
	s_and_saveexec_b32 s2, s40
	s_cbranch_execz .LBB24_213
.LBB24_354:
	v_lshlrev_b32_e32 v4, 3, v64
	ds_load_b64 v[4:5], v4
	ds_load_u8 v6, v1 offset:9216
	s_waitcnt lgkmcnt(1)
	v_add_co_u32 v4, vcc_lo, s58, v4
	v_add_co_ci_u32_e32 v5, vcc_lo, s59, v5, vcc_lo
	s_delay_alu instid0(VALU_DEP_2) | instskip(NEXT) | instid1(VALU_DEP_2)
	v_add_co_u32 v4, vcc_lo, v4, v18
	v_add_co_ci_u32_e32 v5, vcc_lo, 0, v5, vcc_lo
	s_waitcnt lgkmcnt(0)
	global_store_b8 v[4:5], v6, off
	s_or_b32 exec_lo, exec_lo, s2
	s_and_saveexec_b32 s2, s41
	s_cbranch_execz .LBB24_214
.LBB24_355:
	v_lshlrev_b32_e32 v4, 3, v63
	ds_load_b64 v[4:5], v4
	ds_load_u8 v6, v1 offset:9728
	s_waitcnt lgkmcnt(1)
	v_add_co_u32 v4, vcc_lo, s58, v4
	v_add_co_ci_u32_e32 v5, vcc_lo, s59, v5, vcc_lo
	s_delay_alu instid0(VALU_DEP_2) | instskip(NEXT) | instid1(VALU_DEP_2)
	v_add_co_u32 v4, vcc_lo, v4, v22
	v_add_co_ci_u32_e32 v5, vcc_lo, 0, v5, vcc_lo
	s_waitcnt lgkmcnt(0)
	global_store_b8 v[4:5], v6, off
	s_or_b32 exec_lo, exec_lo, s2
	s_and_saveexec_b32 s2, s42
	s_cbranch_execz .LBB24_215
.LBB24_356:
	v_lshlrev_b32_e32 v4, 3, v62
	ds_load_b64 v[4:5], v4
	ds_load_u8 v6, v1 offset:10240
	s_waitcnt lgkmcnt(1)
	v_add_co_u32 v4, vcc_lo, s58, v4
	v_add_co_ci_u32_e32 v5, vcc_lo, s59, v5, vcc_lo
	s_delay_alu instid0(VALU_DEP_2) | instskip(NEXT) | instid1(VALU_DEP_2)
	v_add_co_u32 v4, vcc_lo, v4, v26
	v_add_co_ci_u32_e32 v5, vcc_lo, 0, v5, vcc_lo
	s_waitcnt lgkmcnt(0)
	global_store_b8 v[4:5], v6, off
	s_or_b32 exec_lo, exec_lo, s2
	s_and_saveexec_b32 s2, s43
	s_cbranch_execz .LBB24_216
.LBB24_357:
	v_lshlrev_b32_e32 v4, 3, v60
	ds_load_b64 v[4:5], v4
	ds_load_u8 v6, v1 offset:10752
	s_waitcnt lgkmcnt(1)
	v_add_co_u32 v4, vcc_lo, s58, v4
	v_add_co_ci_u32_e32 v5, vcc_lo, s59, v5, vcc_lo
	s_delay_alu instid0(VALU_DEP_2) | instskip(NEXT) | instid1(VALU_DEP_2)
	v_add_co_u32 v4, vcc_lo, v4, v30
	v_add_co_ci_u32_e32 v5, vcc_lo, 0, v5, vcc_lo
	s_waitcnt lgkmcnt(0)
	global_store_b8 v[4:5], v6, off
	s_or_b32 exec_lo, exec_lo, s2
	s_and_saveexec_b32 s2, s44
	s_cbranch_execz .LBB24_217
.LBB24_358:
	v_lshlrev_b32_e32 v4, 3, v59
	ds_load_b64 v[4:5], v4
	ds_load_u8 v6, v1 offset:11264
	s_waitcnt lgkmcnt(1)
	v_add_co_u32 v4, vcc_lo, s58, v4
	v_add_co_ci_u32_e32 v5, vcc_lo, s59, v5, vcc_lo
	s_delay_alu instid0(VALU_DEP_2) | instskip(NEXT) | instid1(VALU_DEP_2)
	v_add_co_u32 v4, vcc_lo, v4, v34
	v_add_co_ci_u32_e32 v5, vcc_lo, 0, v5, vcc_lo
	s_waitcnt lgkmcnt(0)
	global_store_b8 v[4:5], v6, off
	s_or_b32 exec_lo, exec_lo, s2
	s_and_saveexec_b32 s2, s45
	s_cbranch_execz .LBB24_218
.LBB24_359:
	v_lshlrev_b32_e32 v4, 3, v57
	ds_load_b64 v[4:5], v4
	ds_load_u8 v6, v1 offset:11776
	s_waitcnt lgkmcnt(1)
	v_add_co_u32 v4, vcc_lo, s58, v4
	v_add_co_ci_u32_e32 v5, vcc_lo, s59, v5, vcc_lo
	s_delay_alu instid0(VALU_DEP_2) | instskip(NEXT) | instid1(VALU_DEP_2)
	v_add_co_u32 v4, vcc_lo, v4, v38
	v_add_co_ci_u32_e32 v5, vcc_lo, 0, v5, vcc_lo
	s_waitcnt lgkmcnt(0)
	global_store_b8 v[4:5], v6, off
	s_or_b32 exec_lo, exec_lo, s2
	s_and_saveexec_b32 s2, s46
	s_cbranch_execz .LBB24_219
.LBB24_360:
	v_lshlrev_b32_e32 v3, 3, v3
	ds_load_b64 v[3:4], v3
	ds_load_u8 v5, v1 offset:12288
	s_waitcnt lgkmcnt(1)
	v_add_co_u32 v3, vcc_lo, s58, v3
	v_add_co_ci_u32_e32 v4, vcc_lo, s59, v4, vcc_lo
	s_delay_alu instid0(VALU_DEP_2) | instskip(NEXT) | instid1(VALU_DEP_2)
	v_add_co_u32 v3, vcc_lo, v3, v43
	v_add_co_ci_u32_e32 v4, vcc_lo, 0, v4, vcc_lo
	s_waitcnt lgkmcnt(0)
	global_store_b8 v[3:4], v5, off
	s_or_b32 exec_lo, exec_lo, s2
	s_and_saveexec_b32 s2, s47
	s_cbranch_execnz .LBB24_220
	s_branch .LBB24_221
	.section	.rodata,"a",@progbits
	.p2align	6, 0x0
	.amdhsa_kernel _ZN7rocprim17ROCPRIM_304000_NS6detail25onesweep_iteration_kernelINS1_34wrapped_radix_sort_onesweep_configINS0_14default_configEiN2at4cuda3cub6detail10OpaqueTypeILi1EEEEELb0EPKiPiPKSA_PSA_mNS0_19identity_decomposerEEEvT1_T2_T3_T4_jPT5_SO_PNS1_23onesweep_lookback_stateET6_jjj
		.amdhsa_group_segment_fixed_size 47104
		.amdhsa_private_segment_fixed_size 0
		.amdhsa_kernarg_size 336
		.amdhsa_user_sgpr_count 15
		.amdhsa_user_sgpr_dispatch_ptr 0
		.amdhsa_user_sgpr_queue_ptr 0
		.amdhsa_user_sgpr_kernarg_segment_ptr 1
		.amdhsa_user_sgpr_dispatch_id 0
		.amdhsa_user_sgpr_private_segment_size 0
		.amdhsa_wavefront_size32 1
		.amdhsa_uses_dynamic_stack 0
		.amdhsa_enable_private_segment 0
		.amdhsa_system_sgpr_workgroup_id_x 1
		.amdhsa_system_sgpr_workgroup_id_y 0
		.amdhsa_system_sgpr_workgroup_id_z 0
		.amdhsa_system_sgpr_workgroup_info 0
		.amdhsa_system_vgpr_workitem_id 2
		.amdhsa_next_free_vgpr 106
		.amdhsa_next_free_sgpr 70
		.amdhsa_reserve_vcc 1
		.amdhsa_float_round_mode_32 0
		.amdhsa_float_round_mode_16_64 0
		.amdhsa_float_denorm_mode_32 3
		.amdhsa_float_denorm_mode_16_64 3
		.amdhsa_dx10_clamp 1
		.amdhsa_ieee_mode 1
		.amdhsa_fp16_overflow 0
		.amdhsa_workgroup_processor_mode 1
		.amdhsa_memory_ordered 1
		.amdhsa_forward_progress 0
		.amdhsa_shared_vgpr_count 0
		.amdhsa_exception_fp_ieee_invalid_op 0
		.amdhsa_exception_fp_denorm_src 0
		.amdhsa_exception_fp_ieee_div_zero 0
		.amdhsa_exception_fp_ieee_overflow 0
		.amdhsa_exception_fp_ieee_underflow 0
		.amdhsa_exception_fp_ieee_inexact 0
		.amdhsa_exception_int_div_zero 0
	.end_amdhsa_kernel
	.section	.text._ZN7rocprim17ROCPRIM_304000_NS6detail25onesweep_iteration_kernelINS1_34wrapped_radix_sort_onesweep_configINS0_14default_configEiN2at4cuda3cub6detail10OpaqueTypeILi1EEEEELb0EPKiPiPKSA_PSA_mNS0_19identity_decomposerEEEvT1_T2_T3_T4_jPT5_SO_PNS1_23onesweep_lookback_stateET6_jjj,"axG",@progbits,_ZN7rocprim17ROCPRIM_304000_NS6detail25onesweep_iteration_kernelINS1_34wrapped_radix_sort_onesweep_configINS0_14default_configEiN2at4cuda3cub6detail10OpaqueTypeILi1EEEEELb0EPKiPiPKSA_PSA_mNS0_19identity_decomposerEEEvT1_T2_T3_T4_jPT5_SO_PNS1_23onesweep_lookback_stateET6_jjj,comdat
.Lfunc_end24:
	.size	_ZN7rocprim17ROCPRIM_304000_NS6detail25onesweep_iteration_kernelINS1_34wrapped_radix_sort_onesweep_configINS0_14default_configEiN2at4cuda3cub6detail10OpaqueTypeILi1EEEEELb0EPKiPiPKSA_PSA_mNS0_19identity_decomposerEEEvT1_T2_T3_T4_jPT5_SO_PNS1_23onesweep_lookback_stateET6_jjj, .Lfunc_end24-_ZN7rocprim17ROCPRIM_304000_NS6detail25onesweep_iteration_kernelINS1_34wrapped_radix_sort_onesweep_configINS0_14default_configEiN2at4cuda3cub6detail10OpaqueTypeILi1EEEEELb0EPKiPiPKSA_PSA_mNS0_19identity_decomposerEEEvT1_T2_T3_T4_jPT5_SO_PNS1_23onesweep_lookback_stateET6_jjj
                                        ; -- End function
	.section	.AMDGPU.csdata,"",@progbits
; Kernel info:
; codeLenInByte = 32156
; NumSgprs: 72
; NumVgprs: 106
; ScratchSize: 0
; MemoryBound: 0
; FloatMode: 240
; IeeeMode: 1
; LDSByteSize: 47104 bytes/workgroup (compile time only)
; SGPRBlocks: 8
; VGPRBlocks: 13
; NumSGPRsForWavesPerEU: 72
; NumVGPRsForWavesPerEU: 106
; Occupancy: 8
; WaveLimiterHint : 1
; COMPUTE_PGM_RSRC2:SCRATCH_EN: 0
; COMPUTE_PGM_RSRC2:USER_SGPR: 15
; COMPUTE_PGM_RSRC2:TRAP_HANDLER: 0
; COMPUTE_PGM_RSRC2:TGID_X_EN: 1
; COMPUTE_PGM_RSRC2:TGID_Y_EN: 0
; COMPUTE_PGM_RSRC2:TGID_Z_EN: 0
; COMPUTE_PGM_RSRC2:TIDIG_COMP_CNT: 2
	.section	.text._ZN7rocprim17ROCPRIM_304000_NS6detail25onesweep_iteration_kernelINS1_34wrapped_radix_sort_onesweep_configINS0_14default_configEiN2at4cuda3cub6detail10OpaqueTypeILi1EEEEELb0EPiSC_PSA_SD_mNS0_19identity_decomposerEEEvT1_T2_T3_T4_jPT5_SK_PNS1_23onesweep_lookback_stateET6_jjj,"axG",@progbits,_ZN7rocprim17ROCPRIM_304000_NS6detail25onesweep_iteration_kernelINS1_34wrapped_radix_sort_onesweep_configINS0_14default_configEiN2at4cuda3cub6detail10OpaqueTypeILi1EEEEELb0EPiSC_PSA_SD_mNS0_19identity_decomposerEEEvT1_T2_T3_T4_jPT5_SK_PNS1_23onesweep_lookback_stateET6_jjj,comdat
	.protected	_ZN7rocprim17ROCPRIM_304000_NS6detail25onesweep_iteration_kernelINS1_34wrapped_radix_sort_onesweep_configINS0_14default_configEiN2at4cuda3cub6detail10OpaqueTypeILi1EEEEELb0EPiSC_PSA_SD_mNS0_19identity_decomposerEEEvT1_T2_T3_T4_jPT5_SK_PNS1_23onesweep_lookback_stateET6_jjj ; -- Begin function _ZN7rocprim17ROCPRIM_304000_NS6detail25onesweep_iteration_kernelINS1_34wrapped_radix_sort_onesweep_configINS0_14default_configEiN2at4cuda3cub6detail10OpaqueTypeILi1EEEEELb0EPiSC_PSA_SD_mNS0_19identity_decomposerEEEvT1_T2_T3_T4_jPT5_SK_PNS1_23onesweep_lookback_stateET6_jjj
	.globl	_ZN7rocprim17ROCPRIM_304000_NS6detail25onesweep_iteration_kernelINS1_34wrapped_radix_sort_onesweep_configINS0_14default_configEiN2at4cuda3cub6detail10OpaqueTypeILi1EEEEELb0EPiSC_PSA_SD_mNS0_19identity_decomposerEEEvT1_T2_T3_T4_jPT5_SK_PNS1_23onesweep_lookback_stateET6_jjj
	.p2align	8
	.type	_ZN7rocprim17ROCPRIM_304000_NS6detail25onesweep_iteration_kernelINS1_34wrapped_radix_sort_onesweep_configINS0_14default_configEiN2at4cuda3cub6detail10OpaqueTypeILi1EEEEELb0EPiSC_PSA_SD_mNS0_19identity_decomposerEEEvT1_T2_T3_T4_jPT5_SK_PNS1_23onesweep_lookback_stateET6_jjj,@function
_ZN7rocprim17ROCPRIM_304000_NS6detail25onesweep_iteration_kernelINS1_34wrapped_radix_sort_onesweep_configINS0_14default_configEiN2at4cuda3cub6detail10OpaqueTypeILi1EEEEELb0EPiSC_PSA_SD_mNS0_19identity_decomposerEEEvT1_T2_T3_T4_jPT5_SK_PNS1_23onesweep_lookback_stateET6_jjj: ; @_ZN7rocprim17ROCPRIM_304000_NS6detail25onesweep_iteration_kernelINS1_34wrapped_radix_sort_onesweep_configINS0_14default_configEiN2at4cuda3cub6detail10OpaqueTypeILi1EEEEELb0EPiSC_PSA_SD_mNS0_19identity_decomposerEEEvT1_T2_T3_T4_jPT5_SK_PNS1_23onesweep_lookback_stateET6_jjj
; %bb.0:
	s_clause 0x3
	s_load_b128 s[64:67], s[0:1], 0x44
	s_load_b256 s[52:59], s[0:1], 0x0
	s_load_b128 s[60:63], s[0:1], 0x28
	s_load_b64 s[68:69], s[0:1], 0x38
	v_and_b32_e32 v1, 0x3ff, v0
	v_mbcnt_lo_u32_b32 v11, -1, 0
	s_mul_i32 s50, s15, 0x2c00
	s_waitcnt lgkmcnt(0)
	s_cmp_ge_u32 s15, s66
	s_cbranch_scc0 .LBB25_224
; %bb.1:
	s_load_b32 s4, s[0:1], 0x20
	v_and_b32_e32 v12, 0x1e0, v1
	s_mov_b32 s51, 0
	s_mul_i32 s48, s66, 0xffffd400
	v_lshlrev_b32_e32 v2, 2, v11
	s_lshl_b64 s[2:3], s[50:51], 2
	v_mul_u32_u24_e32 v10, 22, v12
	v_bfrev_b32_e32 v14, -2
	v_bfrev_b32_e32 v13, -2
	s_delay_alu instid0(VALU_DEP_3)
	v_lshlrev_b32_e32 v3, 2, v10
	v_or_b32_e32 v15, v11, v10
	s_waitcnt lgkmcnt(0)
	s_add_i32 s48, s48, s4
	s_add_u32 s2, s52, s2
	s_addc_u32 s3, s53, s3
	v_add_co_u32 v2, s2, s2, v2
	s_delay_alu instid0(VALU_DEP_1) | instskip(SKIP_1) | instid1(VALU_DEP_3)
	v_add_co_ci_u32_e64 v4, null, s3, 0, s2
	v_cmp_gt_u32_e32 vcc_lo, s48, v15
	v_add_co_u32 v2, s2, v2, v3
	s_delay_alu instid0(VALU_DEP_1)
	v_add_co_ci_u32_e64 v3, s2, 0, v4, s2
	s_and_saveexec_b32 s2, vcc_lo
	s_cbranch_execz .LBB25_3
; %bb.2:
	global_load_b32 v13, v[2:3], off
.LBB25_3:
	s_or_b32 exec_lo, exec_lo, s2
	v_add_nc_u32_e32 v4, 32, v15
	s_delay_alu instid0(VALU_DEP_1) | instskip(NEXT) | instid1(VALU_DEP_1)
	v_cmp_gt_u32_e64 s2, s48, v4
	s_and_saveexec_b32 s3, s2
	s_cbranch_execz .LBB25_5
; %bb.4:
	global_load_b32 v14, v[2:3], off offset:128
.LBB25_5:
	s_or_b32 exec_lo, exec_lo, s3
	v_add_nc_u32_e32 v4, 64, v15
	v_bfrev_b32_e32 v22, -2
	v_bfrev_b32_e32 v18, -2
	s_delay_alu instid0(VALU_DEP_3) | instskip(NEXT) | instid1(VALU_DEP_1)
	v_cmp_gt_u32_e64 s3, s48, v4
	s_and_saveexec_b32 s4, s3
	s_cbranch_execz .LBB25_7
; %bb.6:
	global_load_b32 v18, v[2:3], off offset:256
.LBB25_7:
	s_or_b32 exec_lo, exec_lo, s4
	v_add_nc_u32_e32 v4, 0x60, v15
	s_delay_alu instid0(VALU_DEP_1) | instskip(NEXT) | instid1(VALU_DEP_1)
	v_cmp_gt_u32_e64 s4, s48, v4
	s_and_saveexec_b32 s5, s4
	s_cbranch_execz .LBB25_9
; %bb.8:
	global_load_b32 v22, v[2:3], off offset:384
.LBB25_9:
	s_or_b32 exec_lo, exec_lo, s5
	v_add_nc_u32_e32 v4, 0x80, v15
	v_bfrev_b32_e32 v30, -2
	v_bfrev_b32_e32 v26, -2
	s_delay_alu instid0(VALU_DEP_3) | instskip(NEXT) | instid1(VALU_DEP_1)
	v_cmp_gt_u32_e64 s5, s48, v4
	s_and_saveexec_b32 s6, s5
	s_cbranch_execz .LBB25_11
; %bb.10:
	global_load_b32 v26, v[2:3], off offset:512
.LBB25_11:
	;; [unrolled: 20-line block ×9, first 2 shown]
	s_or_b32 exec_lo, exec_lo, s21
	v_add_nc_u32_e32 v4, 0x260, v15
	s_delay_alu instid0(VALU_DEP_1) | instskip(NEXT) | instid1(VALU_DEP_1)
	v_cmp_gt_u32_e64 s21, s48, v4
	s_and_saveexec_b32 s22, s21
	s_cbranch_execz .LBB25_41
; %bb.40:
	global_load_b32 v6, v[2:3], off offset:2432
.LBB25_41:
	s_or_b32 exec_lo, exec_lo, s22
	v_add_nc_u32_e32 v5, 0x280, v15
	v_bfrev_b32_e32 v4, -2
	s_delay_alu instid0(VALU_DEP_2) | instskip(SKIP_1) | instid1(VALU_DEP_2)
	v_cmp_gt_u32_e64 s22, s48, v5
	v_bfrev_b32_e32 v5, -2
	s_and_saveexec_b32 s23, s22
	s_cbranch_execz .LBB25_43
; %bb.42:
	global_load_b32 v5, v[2:3], off offset:2560
.LBB25_43:
	s_or_b32 exec_lo, exec_lo, s23
	v_add_nc_u32_e32 v15, 0x2a0, v15
	s_delay_alu instid0(VALU_DEP_1) | instskip(NEXT) | instid1(VALU_DEP_1)
	v_cmp_gt_u32_e64 s23, s48, v15
	s_and_saveexec_b32 s24, s23
	s_cbranch_execz .LBB25_45
; %bb.44:
	global_load_b32 v4, v[2:3], off offset:2688
.LBB25_45:
	s_or_b32 exec_lo, exec_lo, s24
	s_clause 0x1
	s_load_b32 s24, s[0:1], 0x5c
	s_load_b32 s49, s[0:1], 0x50
	s_add_u32 s25, s0, 0x50
	s_addc_u32 s26, s1, 0
	v_mov_b32_e32 v17, 0
	s_waitcnt vmcnt(0)
	v_xor_b32_e32 v13, 0x80000000, v13
	s_delay_alu instid0(VALU_DEP_1) | instskip(SKIP_4) | instid1(SALU_CYCLE_1)
	v_lshrrev_b32_e32 v2, s64, v13
	s_waitcnt lgkmcnt(0)
	s_lshr_b32 s27, s24, 16
	s_cmp_lt_u32 s15, s49
	s_cselect_b32 s24, 12, 18
	s_add_u32 s24, s25, s24
	s_addc_u32 s25, s26, 0
	global_load_u16 v15, v17, s[24:25]
	s_lshl_b32 s24, -1, s65
	s_delay_alu instid0(SALU_CYCLE_1) | instskip(NEXT) | instid1(SALU_CYCLE_1)
	s_not_b32 s51, s24
	v_and_b32_e32 v19, s51, v2
	v_bfe_u32 v2, v0, 10, 10
	s_delay_alu instid0(VALU_DEP_2)
	v_lshlrev_b32_e32 v16, 30, v19
	v_and_b32_e32 v3, 1, v19
	v_lshlrev_b32_e32 v20, 29, v19
	v_lshlrev_b32_e32 v21, 28, v19
	;; [unrolled: 1-line block ×3, first 2 shown]
	v_not_b32_e32 v28, v16
	v_add_co_u32 v3, s24, v3, -1
	s_delay_alu instid0(VALU_DEP_1)
	v_cndmask_b32_e64 v23, 0, 1, s24
	v_cmp_gt_i32_e64 s25, 0, v16
	v_not_b32_e32 v16, v20
	v_ashrrev_i32_e32 v28, 31, v28
	v_lshlrev_b32_e32 v25, 26, v19
	v_cmp_ne_u32_e64 s24, 0, v23
	v_lshlrev_b32_e32 v27, 25, v19
	v_ashrrev_i32_e32 v16, 31, v16
	v_xor_b32_e32 v28, s25, v28
	v_cmp_gt_i32_e64 s25, 0, v21
	v_xor_b32_e32 v3, s24, v3
	v_cmp_gt_i32_e64 s24, 0, v20
	v_not_b32_e32 v20, v21
	v_not_b32_e32 v21, v24
	v_lshlrev_b32_e32 v23, 24, v19
	v_and_b32_e32 v3, exec_lo, v3
	v_xor_b32_e32 v16, s24, v16
	v_ashrrev_i32_e32 v20, 31, v20
	v_cmp_gt_i32_e64 s24, 0, v24
	v_not_b32_e32 v24, v25
	v_and_b32_e32 v3, v3, v28
	v_ashrrev_i32_e32 v21, 31, v21
	v_xor_b32_e32 v20, s25, v20
	v_cmp_gt_i32_e64 s25, 0, v25
	v_ashrrev_i32_e32 v24, 31, v24
	v_and_b32_e32 v3, v3, v16
	v_not_b32_e32 v16, v27
	v_xor_b32_e32 v21, s24, v21
	v_cmp_gt_i32_e64 s24, 0, v27
	v_xor_b32_e32 v24, s25, v24
	v_and_b32_e32 v3, v3, v20
	v_not_b32_e32 v20, v23
	v_ashrrev_i32_e32 v16, 31, v16
	v_cmp_gt_i32_e64 s25, 0, v23
	v_mul_u32_u24_e32 v23, 9, v1
	v_and_b32_e32 v3, v3, v21
	v_bfe_u32 v21, v0, 20, 10
	v_ashrrev_i32_e32 v20, 31, v20
	v_xor_b32_e32 v16, s24, v16
	s_delay_alu instid0(VALU_DEP_4) | instskip(NEXT) | instid1(VALU_DEP_4)
	v_and_b32_e32 v3, v3, v24
	v_mad_u32_u24 v21, v21, s27, v2
	s_delay_alu instid0(VALU_DEP_4) | instskip(NEXT) | instid1(VALU_DEP_3)
	v_xor_b32_e32 v20, s25, v20
	v_and_b32_e32 v24, v3, v16
	v_lshlrev_b32_e32 v16, 2, v23
	ds_store_2addr_b32 v16, v17, v17 offset0:16 offset1:17
	ds_store_2addr_b32 v16, v17, v17 offset0:18 offset1:19
	;; [unrolled: 1-line block ×4, first 2 shown]
	ds_store_b32 v16, v17 offset:96
	v_lshl_add_u32 v17, v19, 4, v19
	s_waitcnt vmcnt(0) lgkmcnt(0)
	s_barrier
	buffer_gl0_inv
	; wave barrier
	v_mad_u64_u32 v[2:3], null, v21, v15, v[1:2]
	v_and_b32_e32 v3, v24, v20
	s_delay_alu instid0(VALU_DEP_1) | instskip(NEXT) | instid1(VALU_DEP_3)
	v_mbcnt_lo_u32_b32 v15, v3, 0
	v_lshrrev_b32_e32 v2, 5, v2
	v_cmp_ne_u32_e64 s25, 0, v3
	s_delay_alu instid0(VALU_DEP_3) | instskip(NEXT) | instid1(VALU_DEP_3)
	v_cmp_eq_u32_e64 s24, 0, v15
	v_add_lshl_u32 v17, v2, v17, 2
	s_delay_alu instid0(VALU_DEP_2) | instskip(NEXT) | instid1(SALU_CYCLE_1)
	s_and_b32 s25, s25, s24
	s_and_saveexec_b32 s24, s25
	s_cbranch_execz .LBB25_47
; %bb.46:
	v_bcnt_u32_b32 v3, v3, 0
	ds_store_b32 v17, v3 offset:64
.LBB25_47:
	s_or_b32 exec_lo, exec_lo, s24
	v_xor_b32_e32 v14, 0x80000000, v14
	; wave barrier
	s_delay_alu instid0(VALU_DEP_1) | instskip(NEXT) | instid1(VALU_DEP_1)
	v_lshrrev_b32_e32 v3, s64, v14
	v_and_b32_e32 v3, s51, v3
	s_delay_alu instid0(VALU_DEP_1)
	v_and_b32_e32 v19, 1, v3
	v_lshlrev_b32_e32 v20, 30, v3
	v_lshlrev_b32_e32 v21, 29, v3
	;; [unrolled: 1-line block ×4, first 2 shown]
	v_add_co_u32 v19, s24, v19, -1
	s_delay_alu instid0(VALU_DEP_1)
	v_cndmask_b32_e64 v24, 0, 1, s24
	v_not_b32_e32 v29, v20
	v_cmp_gt_i32_e64 s25, 0, v20
	v_not_b32_e32 v20, v21
	v_lshlrev_b32_e32 v27, 26, v3
	v_cmp_ne_u32_e64 s24, 0, v24
	v_ashrrev_i32_e32 v29, 31, v29
	v_lshlrev_b32_e32 v28, 25, v3
	v_ashrrev_i32_e32 v20, 31, v20
	v_lshlrev_b32_e32 v24, 24, v3
	v_xor_b32_e32 v19, s24, v19
	v_cmp_gt_i32_e64 s24, 0, v21
	v_not_b32_e32 v21, v23
	v_xor_b32_e32 v29, s25, v29
	v_cmp_gt_i32_e64 s25, 0, v23
	v_and_b32_e32 v19, exec_lo, v19
	v_not_b32_e32 v23, v25
	v_ashrrev_i32_e32 v21, 31, v21
	v_xor_b32_e32 v20, s24, v20
	v_cmp_gt_i32_e64 s24, 0, v25
	v_and_b32_e32 v19, v19, v29
	v_not_b32_e32 v25, v27
	v_ashrrev_i32_e32 v23, 31, v23
	v_xor_b32_e32 v21, s25, v21
	v_cmp_gt_i32_e64 s25, 0, v27
	v_and_b32_e32 v19, v19, v20
	;; [unrolled: 5-line block ×3, first 2 shown]
	v_not_b32_e32 v21, v24
	v_ashrrev_i32_e32 v20, 31, v20
	v_xor_b32_e32 v25, s25, v25
	v_lshl_add_u32 v3, v3, 4, v3
	v_and_b32_e32 v19, v19, v23
	v_cmp_gt_i32_e64 s25, 0, v24
	v_ashrrev_i32_e32 v23, 31, v21
	v_xor_b32_e32 v20, s24, v20
	v_add_lshl_u32 v21, v2, v3, 2
	v_and_b32_e32 v19, v19, v25
	s_delay_alu instid0(VALU_DEP_4) | instskip(NEXT) | instid1(VALU_DEP_2)
	v_xor_b32_e32 v3, s25, v23
	v_and_b32_e32 v20, v19, v20
	ds_load_b32 v19, v21 offset:64
	; wave barrier
	v_and_b32_e32 v3, v20, v3
	s_delay_alu instid0(VALU_DEP_1) | instskip(SKIP_1) | instid1(VALU_DEP_2)
	v_mbcnt_lo_u32_b32 v20, v3, 0
	v_cmp_ne_u32_e64 s25, 0, v3
	v_cmp_eq_u32_e64 s24, 0, v20
	s_delay_alu instid0(VALU_DEP_1) | instskip(NEXT) | instid1(SALU_CYCLE_1)
	s_and_b32 s25, s25, s24
	s_and_saveexec_b32 s24, s25
	s_cbranch_execz .LBB25_49
; %bb.48:
	s_waitcnt lgkmcnt(0)
	v_bcnt_u32_b32 v3, v3, v19
	ds_store_b32 v21, v3 offset:64
.LBB25_49:
	s_or_b32 exec_lo, exec_lo, s24
	v_xor_b32_e32 v18, 0x80000000, v18
	; wave barrier
	s_delay_alu instid0(VALU_DEP_1) | instskip(NEXT) | instid1(VALU_DEP_1)
	v_lshrrev_b32_e32 v3, s64, v18
	v_and_b32_e32 v3, s51, v3
	s_delay_alu instid0(VALU_DEP_1)
	v_and_b32_e32 v23, 1, v3
	v_lshlrev_b32_e32 v24, 30, v3
	v_lshlrev_b32_e32 v25, 29, v3
	;; [unrolled: 1-line block ×4, first 2 shown]
	v_add_co_u32 v23, s24, v23, -1
	s_delay_alu instid0(VALU_DEP_1)
	v_cndmask_b32_e64 v28, 0, 1, s24
	v_not_b32_e32 v33, v24
	v_cmp_gt_i32_e64 s25, 0, v24
	v_not_b32_e32 v24, v25
	v_lshlrev_b32_e32 v31, 26, v3
	v_cmp_ne_u32_e64 s24, 0, v28
	v_ashrrev_i32_e32 v33, 31, v33
	v_lshlrev_b32_e32 v32, 25, v3
	v_ashrrev_i32_e32 v24, 31, v24
	v_lshlrev_b32_e32 v28, 24, v3
	v_xor_b32_e32 v23, s24, v23
	v_cmp_gt_i32_e64 s24, 0, v25
	v_not_b32_e32 v25, v27
	v_xor_b32_e32 v33, s25, v33
	v_cmp_gt_i32_e64 s25, 0, v27
	v_and_b32_e32 v23, exec_lo, v23
	v_not_b32_e32 v27, v29
	v_ashrrev_i32_e32 v25, 31, v25
	v_xor_b32_e32 v24, s24, v24
	v_cmp_gt_i32_e64 s24, 0, v29
	v_and_b32_e32 v23, v23, v33
	v_not_b32_e32 v29, v31
	v_ashrrev_i32_e32 v27, 31, v27
	v_xor_b32_e32 v25, s25, v25
	v_cmp_gt_i32_e64 s25, 0, v31
	v_and_b32_e32 v23, v23, v24
	;; [unrolled: 5-line block ×3, first 2 shown]
	v_not_b32_e32 v25, v28
	v_ashrrev_i32_e32 v24, 31, v24
	v_xor_b32_e32 v29, s25, v29
	v_lshl_add_u32 v3, v3, 4, v3
	v_and_b32_e32 v23, v23, v27
	v_cmp_gt_i32_e64 s25, 0, v28
	v_ashrrev_i32_e32 v27, 31, v25
	v_xor_b32_e32 v24, s24, v24
	v_add_lshl_u32 v25, v2, v3, 2
	v_and_b32_e32 v23, v23, v29
	s_delay_alu instid0(VALU_DEP_4) | instskip(NEXT) | instid1(VALU_DEP_2)
	v_xor_b32_e32 v3, s25, v27
	v_and_b32_e32 v24, v23, v24
	ds_load_b32 v23, v25 offset:64
	; wave barrier
	v_and_b32_e32 v3, v24, v3
	s_delay_alu instid0(VALU_DEP_1) | instskip(SKIP_1) | instid1(VALU_DEP_2)
	v_mbcnt_lo_u32_b32 v24, v3, 0
	v_cmp_ne_u32_e64 s25, 0, v3
	v_cmp_eq_u32_e64 s24, 0, v24
	s_delay_alu instid0(VALU_DEP_1) | instskip(NEXT) | instid1(SALU_CYCLE_1)
	s_and_b32 s25, s25, s24
	s_and_saveexec_b32 s24, s25
	s_cbranch_execz .LBB25_51
; %bb.50:
	s_waitcnt lgkmcnt(0)
	v_bcnt_u32_b32 v3, v3, v23
	ds_store_b32 v25, v3 offset:64
.LBB25_51:
	s_or_b32 exec_lo, exec_lo, s24
	v_xor_b32_e32 v22, 0x80000000, v22
	; wave barrier
	s_delay_alu instid0(VALU_DEP_1) | instskip(NEXT) | instid1(VALU_DEP_1)
	v_lshrrev_b32_e32 v3, s64, v22
	v_and_b32_e32 v3, s51, v3
	s_delay_alu instid0(VALU_DEP_1)
	v_and_b32_e32 v27, 1, v3
	v_lshlrev_b32_e32 v28, 30, v3
	v_lshlrev_b32_e32 v29, 29, v3
	;; [unrolled: 1-line block ×4, first 2 shown]
	v_add_co_u32 v27, s24, v27, -1
	s_delay_alu instid0(VALU_DEP_1)
	v_cndmask_b32_e64 v32, 0, 1, s24
	v_not_b32_e32 v37, v28
	v_cmp_gt_i32_e64 s25, 0, v28
	v_not_b32_e32 v28, v29
	v_lshlrev_b32_e32 v35, 26, v3
	v_cmp_ne_u32_e64 s24, 0, v32
	v_ashrrev_i32_e32 v37, 31, v37
	v_lshlrev_b32_e32 v36, 25, v3
	v_ashrrev_i32_e32 v28, 31, v28
	v_lshlrev_b32_e32 v32, 24, v3
	v_xor_b32_e32 v27, s24, v27
	v_cmp_gt_i32_e64 s24, 0, v29
	v_not_b32_e32 v29, v31
	v_xor_b32_e32 v37, s25, v37
	v_cmp_gt_i32_e64 s25, 0, v31
	v_and_b32_e32 v27, exec_lo, v27
	v_not_b32_e32 v31, v33
	v_ashrrev_i32_e32 v29, 31, v29
	v_xor_b32_e32 v28, s24, v28
	v_cmp_gt_i32_e64 s24, 0, v33
	v_and_b32_e32 v27, v27, v37
	v_not_b32_e32 v33, v35
	v_ashrrev_i32_e32 v31, 31, v31
	v_xor_b32_e32 v29, s25, v29
	v_cmp_gt_i32_e64 s25, 0, v35
	v_and_b32_e32 v27, v27, v28
	;; [unrolled: 5-line block ×3, first 2 shown]
	v_not_b32_e32 v29, v32
	v_ashrrev_i32_e32 v28, 31, v28
	v_xor_b32_e32 v33, s25, v33
	v_lshl_add_u32 v3, v3, 4, v3
	v_and_b32_e32 v27, v27, v31
	v_cmp_gt_i32_e64 s25, 0, v32
	v_ashrrev_i32_e32 v31, 31, v29
	v_xor_b32_e32 v28, s24, v28
	v_add_lshl_u32 v29, v2, v3, 2
	v_and_b32_e32 v27, v27, v33
	s_delay_alu instid0(VALU_DEP_4) | instskip(NEXT) | instid1(VALU_DEP_2)
	v_xor_b32_e32 v3, s25, v31
	v_and_b32_e32 v28, v27, v28
	ds_load_b32 v27, v29 offset:64
	; wave barrier
	v_and_b32_e32 v3, v28, v3
	s_delay_alu instid0(VALU_DEP_1) | instskip(SKIP_1) | instid1(VALU_DEP_2)
	v_mbcnt_lo_u32_b32 v28, v3, 0
	v_cmp_ne_u32_e64 s25, 0, v3
	v_cmp_eq_u32_e64 s24, 0, v28
	s_delay_alu instid0(VALU_DEP_1) | instskip(NEXT) | instid1(SALU_CYCLE_1)
	s_and_b32 s25, s25, s24
	s_and_saveexec_b32 s24, s25
	s_cbranch_execz .LBB25_53
; %bb.52:
	s_waitcnt lgkmcnt(0)
	v_bcnt_u32_b32 v3, v3, v27
	ds_store_b32 v29, v3 offset:64
.LBB25_53:
	s_or_b32 exec_lo, exec_lo, s24
	v_xor_b32_e32 v26, 0x80000000, v26
	; wave barrier
	s_delay_alu instid0(VALU_DEP_1) | instskip(NEXT) | instid1(VALU_DEP_1)
	v_lshrrev_b32_e32 v3, s64, v26
	v_and_b32_e32 v3, s51, v3
	s_delay_alu instid0(VALU_DEP_1)
	v_and_b32_e32 v31, 1, v3
	v_lshlrev_b32_e32 v32, 30, v3
	v_lshlrev_b32_e32 v33, 29, v3
	;; [unrolled: 1-line block ×4, first 2 shown]
	v_add_co_u32 v31, s24, v31, -1
	s_delay_alu instid0(VALU_DEP_1)
	v_cndmask_b32_e64 v36, 0, 1, s24
	v_not_b32_e32 v41, v32
	v_cmp_gt_i32_e64 s25, 0, v32
	v_not_b32_e32 v32, v33
	v_lshlrev_b32_e32 v39, 26, v3
	v_cmp_ne_u32_e64 s24, 0, v36
	v_ashrrev_i32_e32 v41, 31, v41
	v_lshlrev_b32_e32 v40, 25, v3
	v_ashrrev_i32_e32 v32, 31, v32
	v_lshlrev_b32_e32 v36, 24, v3
	v_xor_b32_e32 v31, s24, v31
	v_cmp_gt_i32_e64 s24, 0, v33
	v_not_b32_e32 v33, v35
	v_xor_b32_e32 v41, s25, v41
	v_cmp_gt_i32_e64 s25, 0, v35
	v_and_b32_e32 v31, exec_lo, v31
	v_not_b32_e32 v35, v37
	v_ashrrev_i32_e32 v33, 31, v33
	v_xor_b32_e32 v32, s24, v32
	v_cmp_gt_i32_e64 s24, 0, v37
	v_and_b32_e32 v31, v31, v41
	v_not_b32_e32 v37, v39
	v_ashrrev_i32_e32 v35, 31, v35
	v_xor_b32_e32 v33, s25, v33
	v_cmp_gt_i32_e64 s25, 0, v39
	v_and_b32_e32 v31, v31, v32
	;; [unrolled: 5-line block ×3, first 2 shown]
	v_not_b32_e32 v33, v36
	v_ashrrev_i32_e32 v32, 31, v32
	v_xor_b32_e32 v37, s25, v37
	v_lshl_add_u32 v3, v3, 4, v3
	v_and_b32_e32 v31, v31, v35
	v_cmp_gt_i32_e64 s25, 0, v36
	v_ashrrev_i32_e32 v35, 31, v33
	v_xor_b32_e32 v32, s24, v32
	v_add_lshl_u32 v33, v2, v3, 2
	v_and_b32_e32 v31, v31, v37
	s_delay_alu instid0(VALU_DEP_4) | instskip(NEXT) | instid1(VALU_DEP_2)
	v_xor_b32_e32 v3, s25, v35
	v_and_b32_e32 v32, v31, v32
	ds_load_b32 v31, v33 offset:64
	; wave barrier
	v_and_b32_e32 v3, v32, v3
	s_delay_alu instid0(VALU_DEP_1) | instskip(SKIP_1) | instid1(VALU_DEP_2)
	v_mbcnt_lo_u32_b32 v32, v3, 0
	v_cmp_ne_u32_e64 s25, 0, v3
	v_cmp_eq_u32_e64 s24, 0, v32
	s_delay_alu instid0(VALU_DEP_1) | instskip(NEXT) | instid1(SALU_CYCLE_1)
	s_and_b32 s25, s25, s24
	s_and_saveexec_b32 s24, s25
	s_cbranch_execz .LBB25_55
; %bb.54:
	s_waitcnt lgkmcnt(0)
	v_bcnt_u32_b32 v3, v3, v31
	ds_store_b32 v33, v3 offset:64
.LBB25_55:
	s_or_b32 exec_lo, exec_lo, s24
	v_xor_b32_e32 v30, 0x80000000, v30
	; wave barrier
	s_delay_alu instid0(VALU_DEP_1) | instskip(NEXT) | instid1(VALU_DEP_1)
	v_lshrrev_b32_e32 v3, s64, v30
	v_and_b32_e32 v3, s51, v3
	s_delay_alu instid0(VALU_DEP_1)
	v_and_b32_e32 v35, 1, v3
	v_lshlrev_b32_e32 v36, 30, v3
	v_lshlrev_b32_e32 v37, 29, v3
	;; [unrolled: 1-line block ×4, first 2 shown]
	v_add_co_u32 v35, s24, v35, -1
	s_delay_alu instid0(VALU_DEP_1)
	v_cndmask_b32_e64 v40, 0, 1, s24
	v_not_b32_e32 v46, v36
	v_cmp_gt_i32_e64 s25, 0, v36
	v_not_b32_e32 v36, v37
	v_lshlrev_b32_e32 v44, 26, v3
	v_cmp_ne_u32_e64 s24, 0, v40
	v_ashrrev_i32_e32 v46, 31, v46
	v_lshlrev_b32_e32 v45, 25, v3
	v_ashrrev_i32_e32 v36, 31, v36
	v_lshlrev_b32_e32 v40, 24, v3
	v_xor_b32_e32 v35, s24, v35
	v_cmp_gt_i32_e64 s24, 0, v37
	v_not_b32_e32 v37, v39
	v_xor_b32_e32 v46, s25, v46
	v_cmp_gt_i32_e64 s25, 0, v39
	v_and_b32_e32 v35, exec_lo, v35
	v_not_b32_e32 v39, v41
	v_ashrrev_i32_e32 v37, 31, v37
	v_xor_b32_e32 v36, s24, v36
	v_cmp_gt_i32_e64 s24, 0, v41
	v_and_b32_e32 v35, v35, v46
	v_not_b32_e32 v41, v44
	v_ashrrev_i32_e32 v39, 31, v39
	v_xor_b32_e32 v37, s25, v37
	v_cmp_gt_i32_e64 s25, 0, v44
	v_and_b32_e32 v35, v35, v36
	;; [unrolled: 5-line block ×3, first 2 shown]
	v_not_b32_e32 v37, v40
	v_ashrrev_i32_e32 v36, 31, v36
	v_xor_b32_e32 v41, s25, v41
	v_lshl_add_u32 v3, v3, 4, v3
	v_and_b32_e32 v35, v35, v39
	v_cmp_gt_i32_e64 s25, 0, v40
	v_ashrrev_i32_e32 v39, 31, v37
	v_xor_b32_e32 v36, s24, v36
	v_add_lshl_u32 v37, v2, v3, 2
	v_and_b32_e32 v35, v35, v41
	s_delay_alu instid0(VALU_DEP_4) | instskip(NEXT) | instid1(VALU_DEP_2)
	v_xor_b32_e32 v3, s25, v39
	v_and_b32_e32 v36, v35, v36
	ds_load_b32 v35, v37 offset:64
	; wave barrier
	v_and_b32_e32 v3, v36, v3
	s_delay_alu instid0(VALU_DEP_1) | instskip(SKIP_1) | instid1(VALU_DEP_2)
	v_mbcnt_lo_u32_b32 v36, v3, 0
	v_cmp_ne_u32_e64 s25, 0, v3
	v_cmp_eq_u32_e64 s24, 0, v36
	s_delay_alu instid0(VALU_DEP_1) | instskip(NEXT) | instid1(SALU_CYCLE_1)
	s_and_b32 s25, s25, s24
	s_and_saveexec_b32 s24, s25
	s_cbranch_execz .LBB25_57
; %bb.56:
	s_waitcnt lgkmcnt(0)
	v_bcnt_u32_b32 v3, v3, v35
	ds_store_b32 v37, v3 offset:64
.LBB25_57:
	s_or_b32 exec_lo, exec_lo, s24
	v_xor_b32_e32 v34, 0x80000000, v34
	; wave barrier
	s_delay_alu instid0(VALU_DEP_1) | instskip(NEXT) | instid1(VALU_DEP_1)
	v_lshrrev_b32_e32 v3, s64, v34
	v_and_b32_e32 v3, s51, v3
	s_delay_alu instid0(VALU_DEP_1)
	v_and_b32_e32 v39, 1, v3
	v_lshlrev_b32_e32 v40, 30, v3
	v_lshlrev_b32_e32 v41, 29, v3
	;; [unrolled: 1-line block ×4, first 2 shown]
	v_add_co_u32 v39, s24, v39, -1
	s_delay_alu instid0(VALU_DEP_1)
	v_cndmask_b32_e64 v45, 0, 1, s24
	v_not_b32_e32 v52, v40
	v_cmp_gt_i32_e64 s25, 0, v40
	v_not_b32_e32 v40, v41
	v_lshlrev_b32_e32 v49, 26, v3
	v_cmp_ne_u32_e64 s24, 0, v45
	v_ashrrev_i32_e32 v52, 31, v52
	v_lshlrev_b32_e32 v50, 25, v3
	v_ashrrev_i32_e32 v40, 31, v40
	v_lshlrev_b32_e32 v45, 24, v3
	v_xor_b32_e32 v39, s24, v39
	v_cmp_gt_i32_e64 s24, 0, v41
	v_not_b32_e32 v41, v44
	v_xor_b32_e32 v52, s25, v52
	v_cmp_gt_i32_e64 s25, 0, v44
	v_and_b32_e32 v39, exec_lo, v39
	v_not_b32_e32 v44, v46
	v_ashrrev_i32_e32 v41, 31, v41
	v_xor_b32_e32 v40, s24, v40
	v_cmp_gt_i32_e64 s24, 0, v46
	v_and_b32_e32 v39, v39, v52
	v_not_b32_e32 v46, v49
	v_ashrrev_i32_e32 v44, 31, v44
	v_xor_b32_e32 v41, s25, v41
	v_cmp_gt_i32_e64 s25, 0, v49
	v_and_b32_e32 v39, v39, v40
	;; [unrolled: 5-line block ×3, first 2 shown]
	v_not_b32_e32 v41, v45
	v_ashrrev_i32_e32 v40, 31, v40
	v_xor_b32_e32 v46, s25, v46
	v_lshl_add_u32 v3, v3, 4, v3
	v_and_b32_e32 v39, v39, v44
	v_cmp_gt_i32_e64 s25, 0, v45
	v_ashrrev_i32_e32 v44, 31, v41
	v_xor_b32_e32 v40, s24, v40
	v_add_lshl_u32 v41, v2, v3, 2
	v_and_b32_e32 v39, v39, v46
	s_delay_alu instid0(VALU_DEP_4) | instskip(NEXT) | instid1(VALU_DEP_2)
	v_xor_b32_e32 v3, s25, v44
	v_and_b32_e32 v40, v39, v40
	ds_load_b32 v39, v41 offset:64
	; wave barrier
	v_and_b32_e32 v3, v40, v3
	s_delay_alu instid0(VALU_DEP_1) | instskip(SKIP_1) | instid1(VALU_DEP_2)
	v_mbcnt_lo_u32_b32 v40, v3, 0
	v_cmp_ne_u32_e64 s25, 0, v3
	v_cmp_eq_u32_e64 s24, 0, v40
	s_delay_alu instid0(VALU_DEP_1) | instskip(NEXT) | instid1(SALU_CYCLE_1)
	s_and_b32 s25, s25, s24
	s_and_saveexec_b32 s24, s25
	s_cbranch_execz .LBB25_59
; %bb.58:
	s_waitcnt lgkmcnt(0)
	v_bcnt_u32_b32 v3, v3, v39
	ds_store_b32 v41, v3 offset:64
.LBB25_59:
	s_or_b32 exec_lo, exec_lo, s24
	v_xor_b32_e32 v38, 0x80000000, v38
	; wave barrier
	s_delay_alu instid0(VALU_DEP_1) | instskip(NEXT) | instid1(VALU_DEP_1)
	v_lshrrev_b32_e32 v3, s64, v38
	v_and_b32_e32 v3, s51, v3
	s_delay_alu instid0(VALU_DEP_1)
	v_and_b32_e32 v44, 1, v3
	v_lshlrev_b32_e32 v45, 30, v3
	v_lshlrev_b32_e32 v46, 29, v3
	;; [unrolled: 1-line block ×4, first 2 shown]
	v_add_co_u32 v44, s24, v44, -1
	s_delay_alu instid0(VALU_DEP_1)
	v_cndmask_b32_e64 v50, 0, 1, s24
	v_not_b32_e32 v57, v45
	v_cmp_gt_i32_e64 s25, 0, v45
	v_not_b32_e32 v45, v46
	v_lshlrev_b32_e32 v54, 26, v3
	v_cmp_ne_u32_e64 s24, 0, v50
	v_ashrrev_i32_e32 v57, 31, v57
	v_lshlrev_b32_e32 v55, 25, v3
	v_ashrrev_i32_e32 v45, 31, v45
	v_lshlrev_b32_e32 v50, 24, v3
	v_xor_b32_e32 v44, s24, v44
	v_cmp_gt_i32_e64 s24, 0, v46
	v_not_b32_e32 v46, v49
	v_xor_b32_e32 v57, s25, v57
	v_cmp_gt_i32_e64 s25, 0, v49
	v_and_b32_e32 v44, exec_lo, v44
	v_not_b32_e32 v49, v52
	v_ashrrev_i32_e32 v46, 31, v46
	v_xor_b32_e32 v45, s24, v45
	v_cmp_gt_i32_e64 s24, 0, v52
	v_and_b32_e32 v44, v44, v57
	v_not_b32_e32 v52, v54
	v_ashrrev_i32_e32 v49, 31, v49
	v_xor_b32_e32 v46, s25, v46
	v_cmp_gt_i32_e64 s25, 0, v54
	v_and_b32_e32 v44, v44, v45
	;; [unrolled: 5-line block ×3, first 2 shown]
	v_not_b32_e32 v46, v50
	v_ashrrev_i32_e32 v45, 31, v45
	v_xor_b32_e32 v52, s25, v52
	v_lshl_add_u32 v3, v3, 4, v3
	v_and_b32_e32 v44, v44, v49
	v_cmp_gt_i32_e64 s25, 0, v50
	v_ashrrev_i32_e32 v49, 31, v46
	v_xor_b32_e32 v45, s24, v45
	v_add_lshl_u32 v46, v2, v3, 2
	v_and_b32_e32 v44, v44, v52
	s_delay_alu instid0(VALU_DEP_4) | instskip(NEXT) | instid1(VALU_DEP_2)
	v_xor_b32_e32 v3, s25, v49
	v_and_b32_e32 v45, v44, v45
	ds_load_b32 v44, v46 offset:64
	; wave barrier
	v_and_b32_e32 v3, v45, v3
	s_delay_alu instid0(VALU_DEP_1) | instskip(SKIP_1) | instid1(VALU_DEP_2)
	v_mbcnt_lo_u32_b32 v45, v3, 0
	v_cmp_ne_u32_e64 s25, 0, v3
	v_cmp_eq_u32_e64 s24, 0, v45
	s_delay_alu instid0(VALU_DEP_1) | instskip(NEXT) | instid1(SALU_CYCLE_1)
	s_and_b32 s25, s25, s24
	s_and_saveexec_b32 s24, s25
	s_cbranch_execz .LBB25_61
; %bb.60:
	s_waitcnt lgkmcnt(0)
	v_bcnt_u32_b32 v3, v3, v44
	ds_store_b32 v46, v3 offset:64
.LBB25_61:
	s_or_b32 exec_lo, exec_lo, s24
	v_xor_b32_e32 v43, 0x80000000, v43
	; wave barrier
	s_delay_alu instid0(VALU_DEP_1) | instskip(NEXT) | instid1(VALU_DEP_1)
	v_lshrrev_b32_e32 v3, s64, v43
	v_and_b32_e32 v3, s51, v3
	s_delay_alu instid0(VALU_DEP_1)
	v_and_b32_e32 v49, 1, v3
	v_lshlrev_b32_e32 v50, 30, v3
	v_lshlrev_b32_e32 v52, 29, v3
	;; [unrolled: 1-line block ×4, first 2 shown]
	v_add_co_u32 v49, s24, v49, -1
	s_delay_alu instid0(VALU_DEP_1)
	v_cndmask_b32_e64 v55, 0, 1, s24
	v_not_b32_e32 v61, v50
	v_cmp_gt_i32_e64 s25, 0, v50
	v_not_b32_e32 v50, v52
	v_lshlrev_b32_e32 v59, 26, v3
	v_cmp_ne_u32_e64 s24, 0, v55
	v_ashrrev_i32_e32 v61, 31, v61
	v_lshlrev_b32_e32 v60, 25, v3
	v_ashrrev_i32_e32 v50, 31, v50
	v_lshlrev_b32_e32 v55, 24, v3
	v_xor_b32_e32 v49, s24, v49
	v_cmp_gt_i32_e64 s24, 0, v52
	v_not_b32_e32 v52, v54
	v_xor_b32_e32 v61, s25, v61
	v_cmp_gt_i32_e64 s25, 0, v54
	v_and_b32_e32 v49, exec_lo, v49
	v_not_b32_e32 v54, v57
	v_ashrrev_i32_e32 v52, 31, v52
	v_xor_b32_e32 v50, s24, v50
	v_cmp_gt_i32_e64 s24, 0, v57
	v_and_b32_e32 v49, v49, v61
	v_not_b32_e32 v57, v59
	v_ashrrev_i32_e32 v54, 31, v54
	v_xor_b32_e32 v52, s25, v52
	v_cmp_gt_i32_e64 s25, 0, v59
	v_and_b32_e32 v49, v49, v50
	;; [unrolled: 5-line block ×3, first 2 shown]
	v_not_b32_e32 v52, v55
	v_ashrrev_i32_e32 v50, 31, v50
	v_xor_b32_e32 v57, s25, v57
	v_lshl_add_u32 v3, v3, 4, v3
	v_and_b32_e32 v49, v49, v54
	v_cmp_gt_i32_e64 s25, 0, v55
	v_ashrrev_i32_e32 v54, 31, v52
	v_xor_b32_e32 v50, s24, v50
	v_add_lshl_u32 v52, v2, v3, 2
	v_and_b32_e32 v49, v49, v57
	s_delay_alu instid0(VALU_DEP_4) | instskip(NEXT) | instid1(VALU_DEP_2)
	v_xor_b32_e32 v3, s25, v54
	v_and_b32_e32 v50, v49, v50
	ds_load_b32 v49, v52 offset:64
	; wave barrier
	v_and_b32_e32 v3, v50, v3
	s_delay_alu instid0(VALU_DEP_1) | instskip(SKIP_1) | instid1(VALU_DEP_2)
	v_mbcnt_lo_u32_b32 v50, v3, 0
	v_cmp_ne_u32_e64 s25, 0, v3
	v_cmp_eq_u32_e64 s24, 0, v50
	s_delay_alu instid0(VALU_DEP_1) | instskip(NEXT) | instid1(SALU_CYCLE_1)
	s_and_b32 s25, s25, s24
	s_and_saveexec_b32 s24, s25
	s_cbranch_execz .LBB25_63
; %bb.62:
	s_waitcnt lgkmcnt(0)
	v_bcnt_u32_b32 v3, v3, v49
	ds_store_b32 v52, v3 offset:64
.LBB25_63:
	s_or_b32 exec_lo, exec_lo, s24
	v_xor_b32_e32 v48, 0x80000000, v48
	; wave barrier
	s_delay_alu instid0(VALU_DEP_1) | instskip(NEXT) | instid1(VALU_DEP_1)
	v_lshrrev_b32_e32 v3, s64, v48
	v_and_b32_e32 v3, s51, v3
	s_delay_alu instid0(VALU_DEP_1)
	v_and_b32_e32 v54, 1, v3
	v_lshlrev_b32_e32 v55, 30, v3
	v_lshlrev_b32_e32 v57, 29, v3
	;; [unrolled: 1-line block ×4, first 2 shown]
	v_add_co_u32 v54, s24, v54, -1
	s_delay_alu instid0(VALU_DEP_1)
	v_cndmask_b32_e64 v60, 0, 1, s24
	v_not_b32_e32 v64, v55
	v_cmp_gt_i32_e64 s25, 0, v55
	v_not_b32_e32 v55, v57
	v_lshlrev_b32_e32 v62, 26, v3
	v_cmp_ne_u32_e64 s24, 0, v60
	v_ashrrev_i32_e32 v64, 31, v64
	v_lshlrev_b32_e32 v63, 25, v3
	v_ashrrev_i32_e32 v55, 31, v55
	v_lshlrev_b32_e32 v60, 24, v3
	v_xor_b32_e32 v54, s24, v54
	v_cmp_gt_i32_e64 s24, 0, v57
	v_not_b32_e32 v57, v59
	v_xor_b32_e32 v64, s25, v64
	v_cmp_gt_i32_e64 s25, 0, v59
	v_and_b32_e32 v54, exec_lo, v54
	v_not_b32_e32 v59, v61
	v_ashrrev_i32_e32 v57, 31, v57
	v_xor_b32_e32 v55, s24, v55
	v_cmp_gt_i32_e64 s24, 0, v61
	v_and_b32_e32 v54, v54, v64
	v_not_b32_e32 v61, v62
	v_ashrrev_i32_e32 v59, 31, v59
	v_xor_b32_e32 v57, s25, v57
	v_cmp_gt_i32_e64 s25, 0, v62
	v_and_b32_e32 v54, v54, v55
	;; [unrolled: 5-line block ×3, first 2 shown]
	v_not_b32_e32 v57, v60
	v_ashrrev_i32_e32 v55, 31, v55
	v_xor_b32_e32 v61, s25, v61
	v_lshl_add_u32 v3, v3, 4, v3
	v_and_b32_e32 v54, v54, v59
	v_cmp_gt_i32_e64 s25, 0, v60
	v_ashrrev_i32_e32 v59, 31, v57
	v_xor_b32_e32 v55, s24, v55
	v_add_lshl_u32 v57, v2, v3, 2
	v_and_b32_e32 v54, v54, v61
	s_delay_alu instid0(VALU_DEP_4) | instskip(NEXT) | instid1(VALU_DEP_2)
	v_xor_b32_e32 v3, s25, v59
	v_and_b32_e32 v55, v54, v55
	ds_load_b32 v54, v57 offset:64
	; wave barrier
	v_and_b32_e32 v3, v55, v3
	s_delay_alu instid0(VALU_DEP_1) | instskip(SKIP_1) | instid1(VALU_DEP_2)
	v_mbcnt_lo_u32_b32 v55, v3, 0
	v_cmp_ne_u32_e64 s25, 0, v3
	v_cmp_eq_u32_e64 s24, 0, v55
	s_delay_alu instid0(VALU_DEP_1) | instskip(NEXT) | instid1(SALU_CYCLE_1)
	s_and_b32 s25, s25, s24
	s_and_saveexec_b32 s24, s25
	s_cbranch_execz .LBB25_65
; %bb.64:
	s_waitcnt lgkmcnt(0)
	v_bcnt_u32_b32 v3, v3, v54
	ds_store_b32 v57, v3 offset:64
.LBB25_65:
	s_or_b32 exec_lo, exec_lo, s24
	v_xor_b32_e32 v53, 0x80000000, v53
	; wave barrier
	s_delay_alu instid0(VALU_DEP_1) | instskip(NEXT) | instid1(VALU_DEP_1)
	v_lshrrev_b32_e32 v3, s64, v53
	v_and_b32_e32 v3, s51, v3
	s_delay_alu instid0(VALU_DEP_1)
	v_and_b32_e32 v59, 1, v3
	v_lshlrev_b32_e32 v60, 30, v3
	v_lshlrev_b32_e32 v61, 29, v3
	;; [unrolled: 1-line block ×4, first 2 shown]
	v_add_co_u32 v59, s24, v59, -1
	s_delay_alu instid0(VALU_DEP_1)
	v_cndmask_b32_e64 v63, 0, 1, s24
	v_not_b32_e32 v67, v60
	v_cmp_gt_i32_e64 s25, 0, v60
	v_not_b32_e32 v60, v61
	v_lshlrev_b32_e32 v65, 26, v3
	v_cmp_ne_u32_e64 s24, 0, v63
	v_ashrrev_i32_e32 v67, 31, v67
	v_lshlrev_b32_e32 v66, 25, v3
	v_ashrrev_i32_e32 v60, 31, v60
	v_lshlrev_b32_e32 v63, 24, v3
	v_xor_b32_e32 v59, s24, v59
	v_cmp_gt_i32_e64 s24, 0, v61
	v_not_b32_e32 v61, v62
	v_xor_b32_e32 v67, s25, v67
	v_cmp_gt_i32_e64 s25, 0, v62
	v_and_b32_e32 v59, exec_lo, v59
	v_not_b32_e32 v62, v64
	v_ashrrev_i32_e32 v61, 31, v61
	v_xor_b32_e32 v60, s24, v60
	v_cmp_gt_i32_e64 s24, 0, v64
	v_and_b32_e32 v59, v59, v67
	v_not_b32_e32 v64, v65
	v_ashrrev_i32_e32 v62, 31, v62
	v_xor_b32_e32 v61, s25, v61
	v_cmp_gt_i32_e64 s25, 0, v65
	v_and_b32_e32 v59, v59, v60
	;; [unrolled: 5-line block ×3, first 2 shown]
	v_not_b32_e32 v61, v63
	v_ashrrev_i32_e32 v60, 31, v60
	v_xor_b32_e32 v64, s25, v64
	v_lshl_add_u32 v3, v3, 4, v3
	v_and_b32_e32 v59, v59, v62
	v_cmp_gt_i32_e64 s25, 0, v63
	v_ashrrev_i32_e32 v62, 31, v61
	v_xor_b32_e32 v60, s24, v60
	v_add_lshl_u32 v61, v2, v3, 2
	v_and_b32_e32 v59, v59, v64
	s_delay_alu instid0(VALU_DEP_4) | instskip(NEXT) | instid1(VALU_DEP_2)
	v_xor_b32_e32 v3, s25, v62
	v_and_b32_e32 v60, v59, v60
	ds_load_b32 v59, v61 offset:64
	; wave barrier
	v_and_b32_e32 v3, v60, v3
	s_delay_alu instid0(VALU_DEP_1) | instskip(SKIP_1) | instid1(VALU_DEP_2)
	v_mbcnt_lo_u32_b32 v60, v3, 0
	v_cmp_ne_u32_e64 s25, 0, v3
	v_cmp_eq_u32_e64 s24, 0, v60
	s_delay_alu instid0(VALU_DEP_1) | instskip(NEXT) | instid1(SALU_CYCLE_1)
	s_and_b32 s25, s25, s24
	s_and_saveexec_b32 s24, s25
	s_cbranch_execz .LBB25_67
; %bb.66:
	s_waitcnt lgkmcnt(0)
	v_bcnt_u32_b32 v3, v3, v59
	ds_store_b32 v61, v3 offset:64
.LBB25_67:
	s_or_b32 exec_lo, exec_lo, s24
	v_xor_b32_e32 v58, 0x80000000, v58
	; wave barrier
	s_delay_alu instid0(VALU_DEP_1) | instskip(NEXT) | instid1(VALU_DEP_1)
	v_lshrrev_b32_e32 v3, s64, v58
	v_and_b32_e32 v3, s51, v3
	s_delay_alu instid0(VALU_DEP_1)
	v_and_b32_e32 v62, 1, v3
	v_lshlrev_b32_e32 v63, 30, v3
	v_lshlrev_b32_e32 v64, 29, v3
	;; [unrolled: 1-line block ×4, first 2 shown]
	v_add_co_u32 v62, s24, v62, -1
	s_delay_alu instid0(VALU_DEP_1)
	v_cndmask_b32_e64 v66, 0, 1, s24
	v_not_b32_e32 v70, v63
	v_cmp_gt_i32_e64 s25, 0, v63
	v_not_b32_e32 v63, v64
	v_lshlrev_b32_e32 v68, 26, v3
	v_cmp_ne_u32_e64 s24, 0, v66
	v_ashrrev_i32_e32 v70, 31, v70
	v_lshlrev_b32_e32 v69, 25, v3
	v_ashrrev_i32_e32 v63, 31, v63
	v_lshlrev_b32_e32 v66, 24, v3
	v_xor_b32_e32 v62, s24, v62
	v_cmp_gt_i32_e64 s24, 0, v64
	v_not_b32_e32 v64, v65
	v_xor_b32_e32 v70, s25, v70
	v_cmp_gt_i32_e64 s25, 0, v65
	v_and_b32_e32 v62, exec_lo, v62
	v_not_b32_e32 v65, v67
	v_ashrrev_i32_e32 v64, 31, v64
	v_xor_b32_e32 v63, s24, v63
	v_cmp_gt_i32_e64 s24, 0, v67
	v_and_b32_e32 v62, v62, v70
	v_not_b32_e32 v67, v68
	v_ashrrev_i32_e32 v65, 31, v65
	v_xor_b32_e32 v64, s25, v64
	v_cmp_gt_i32_e64 s25, 0, v68
	v_and_b32_e32 v62, v62, v63
	;; [unrolled: 5-line block ×3, first 2 shown]
	v_not_b32_e32 v64, v66
	v_ashrrev_i32_e32 v63, 31, v63
	v_xor_b32_e32 v67, s25, v67
	v_lshl_add_u32 v3, v3, 4, v3
	v_and_b32_e32 v62, v62, v65
	v_cmp_gt_i32_e64 s25, 0, v66
	v_ashrrev_i32_e32 v65, 31, v64
	v_xor_b32_e32 v63, s24, v63
	v_add_lshl_u32 v64, v2, v3, 2
	v_and_b32_e32 v62, v62, v67
	s_delay_alu instid0(VALU_DEP_4) | instskip(NEXT) | instid1(VALU_DEP_2)
	v_xor_b32_e32 v3, s25, v65
	v_and_b32_e32 v63, v62, v63
	ds_load_b32 v62, v64 offset:64
	; wave barrier
	v_and_b32_e32 v3, v63, v3
	s_delay_alu instid0(VALU_DEP_1) | instskip(SKIP_1) | instid1(VALU_DEP_2)
	v_mbcnt_lo_u32_b32 v63, v3, 0
	v_cmp_ne_u32_e64 s25, 0, v3
	v_cmp_eq_u32_e64 s24, 0, v63
	s_delay_alu instid0(VALU_DEP_1) | instskip(NEXT) | instid1(SALU_CYCLE_1)
	s_and_b32 s25, s25, s24
	s_and_saveexec_b32 s24, s25
	s_cbranch_execz .LBB25_69
; %bb.68:
	s_waitcnt lgkmcnt(0)
	v_bcnt_u32_b32 v3, v3, v62
	ds_store_b32 v64, v3 offset:64
.LBB25_69:
	s_or_b32 exec_lo, exec_lo, s24
	v_xor_b32_e32 v56, 0x80000000, v56
	; wave barrier
	s_delay_alu instid0(VALU_DEP_1) | instskip(NEXT) | instid1(VALU_DEP_1)
	v_lshrrev_b32_e32 v3, s64, v56
	v_and_b32_e32 v3, s51, v3
	s_delay_alu instid0(VALU_DEP_1)
	v_and_b32_e32 v65, 1, v3
	v_lshlrev_b32_e32 v66, 30, v3
	v_lshlrev_b32_e32 v67, 29, v3
	;; [unrolled: 1-line block ×4, first 2 shown]
	v_add_co_u32 v65, s24, v65, -1
	s_delay_alu instid0(VALU_DEP_1)
	v_cndmask_b32_e64 v69, 0, 1, s24
	v_not_b32_e32 v73, v66
	v_cmp_gt_i32_e64 s25, 0, v66
	v_not_b32_e32 v66, v67
	v_lshlrev_b32_e32 v71, 26, v3
	v_cmp_ne_u32_e64 s24, 0, v69
	v_ashrrev_i32_e32 v73, 31, v73
	v_lshlrev_b32_e32 v72, 25, v3
	v_ashrrev_i32_e32 v66, 31, v66
	v_lshlrev_b32_e32 v69, 24, v3
	v_xor_b32_e32 v65, s24, v65
	v_cmp_gt_i32_e64 s24, 0, v67
	v_not_b32_e32 v67, v68
	v_xor_b32_e32 v73, s25, v73
	v_cmp_gt_i32_e64 s25, 0, v68
	v_and_b32_e32 v65, exec_lo, v65
	v_not_b32_e32 v68, v70
	v_ashrrev_i32_e32 v67, 31, v67
	v_xor_b32_e32 v66, s24, v66
	v_cmp_gt_i32_e64 s24, 0, v70
	v_and_b32_e32 v65, v65, v73
	v_not_b32_e32 v70, v71
	v_ashrrev_i32_e32 v68, 31, v68
	v_xor_b32_e32 v67, s25, v67
	v_cmp_gt_i32_e64 s25, 0, v71
	v_and_b32_e32 v65, v65, v66
	;; [unrolled: 5-line block ×3, first 2 shown]
	v_not_b32_e32 v67, v69
	v_ashrrev_i32_e32 v66, 31, v66
	v_xor_b32_e32 v70, s25, v70
	v_lshl_add_u32 v3, v3, 4, v3
	v_and_b32_e32 v65, v65, v68
	v_cmp_gt_i32_e64 s25, 0, v69
	v_ashrrev_i32_e32 v68, 31, v67
	v_xor_b32_e32 v66, s24, v66
	v_add_lshl_u32 v67, v2, v3, 2
	v_and_b32_e32 v65, v65, v70
	s_delay_alu instid0(VALU_DEP_4) | instskip(NEXT) | instid1(VALU_DEP_2)
	v_xor_b32_e32 v3, s25, v68
	v_and_b32_e32 v66, v65, v66
	ds_load_b32 v65, v67 offset:64
	; wave barrier
	v_and_b32_e32 v3, v66, v3
	s_delay_alu instid0(VALU_DEP_1) | instskip(SKIP_1) | instid1(VALU_DEP_2)
	v_mbcnt_lo_u32_b32 v66, v3, 0
	v_cmp_ne_u32_e64 s25, 0, v3
	v_cmp_eq_u32_e64 s24, 0, v66
	s_delay_alu instid0(VALU_DEP_1) | instskip(NEXT) | instid1(SALU_CYCLE_1)
	s_and_b32 s25, s25, s24
	s_and_saveexec_b32 s24, s25
	s_cbranch_execz .LBB25_71
; %bb.70:
	s_waitcnt lgkmcnt(0)
	v_bcnt_u32_b32 v3, v3, v65
	ds_store_b32 v67, v3 offset:64
.LBB25_71:
	s_or_b32 exec_lo, exec_lo, s24
	v_xor_b32_e32 v51, 0x80000000, v51
	; wave barrier
	s_delay_alu instid0(VALU_DEP_1) | instskip(NEXT) | instid1(VALU_DEP_1)
	v_lshrrev_b32_e32 v3, s64, v51
	v_and_b32_e32 v3, s51, v3
	s_delay_alu instid0(VALU_DEP_1)
	v_and_b32_e32 v68, 1, v3
	v_lshlrev_b32_e32 v69, 30, v3
	v_lshlrev_b32_e32 v70, 29, v3
	v_lshlrev_b32_e32 v71, 28, v3
	v_lshlrev_b32_e32 v73, 27, v3
	v_add_co_u32 v68, s24, v68, -1
	s_delay_alu instid0(VALU_DEP_1)
	v_cndmask_b32_e64 v72, 0, 1, s24
	v_not_b32_e32 v76, v69
	v_cmp_gt_i32_e64 s25, 0, v69
	v_not_b32_e32 v69, v70
	v_lshlrev_b32_e32 v74, 26, v3
	v_cmp_ne_u32_e64 s24, 0, v72
	v_ashrrev_i32_e32 v76, 31, v76
	v_lshlrev_b32_e32 v75, 25, v3
	v_ashrrev_i32_e32 v69, 31, v69
	v_lshlrev_b32_e32 v72, 24, v3
	v_xor_b32_e32 v68, s24, v68
	v_cmp_gt_i32_e64 s24, 0, v70
	v_not_b32_e32 v70, v71
	v_xor_b32_e32 v76, s25, v76
	v_cmp_gt_i32_e64 s25, 0, v71
	v_and_b32_e32 v68, exec_lo, v68
	v_not_b32_e32 v71, v73
	v_ashrrev_i32_e32 v70, 31, v70
	v_xor_b32_e32 v69, s24, v69
	v_cmp_gt_i32_e64 s24, 0, v73
	v_and_b32_e32 v68, v68, v76
	v_not_b32_e32 v73, v74
	v_ashrrev_i32_e32 v71, 31, v71
	v_xor_b32_e32 v70, s25, v70
	v_cmp_gt_i32_e64 s25, 0, v74
	v_and_b32_e32 v68, v68, v69
	;; [unrolled: 5-line block ×3, first 2 shown]
	v_not_b32_e32 v70, v72
	v_ashrrev_i32_e32 v69, 31, v69
	v_xor_b32_e32 v73, s25, v73
	v_lshl_add_u32 v3, v3, 4, v3
	v_and_b32_e32 v68, v68, v71
	v_cmp_gt_i32_e64 s25, 0, v72
	v_ashrrev_i32_e32 v71, 31, v70
	v_xor_b32_e32 v69, s24, v69
	v_add_lshl_u32 v70, v2, v3, 2
	v_and_b32_e32 v68, v68, v73
	s_delay_alu instid0(VALU_DEP_4) | instskip(NEXT) | instid1(VALU_DEP_2)
	v_xor_b32_e32 v3, s25, v71
	v_and_b32_e32 v69, v68, v69
	ds_load_b32 v68, v70 offset:64
	; wave barrier
	v_and_b32_e32 v3, v69, v3
	s_delay_alu instid0(VALU_DEP_1) | instskip(SKIP_1) | instid1(VALU_DEP_2)
	v_mbcnt_lo_u32_b32 v69, v3, 0
	v_cmp_ne_u32_e64 s25, 0, v3
	v_cmp_eq_u32_e64 s24, 0, v69
	s_delay_alu instid0(VALU_DEP_1) | instskip(NEXT) | instid1(SALU_CYCLE_1)
	s_and_b32 s25, s25, s24
	s_and_saveexec_b32 s24, s25
	s_cbranch_execz .LBB25_73
; %bb.72:
	s_waitcnt lgkmcnt(0)
	v_bcnt_u32_b32 v3, v3, v68
	ds_store_b32 v70, v3 offset:64
.LBB25_73:
	s_or_b32 exec_lo, exec_lo, s24
	v_xor_b32_e32 v47, 0x80000000, v47
	; wave barrier
	s_delay_alu instid0(VALU_DEP_1) | instskip(NEXT) | instid1(VALU_DEP_1)
	v_lshrrev_b32_e32 v3, s64, v47
	v_and_b32_e32 v3, s51, v3
	s_delay_alu instid0(VALU_DEP_1)
	v_and_b32_e32 v71, 1, v3
	v_lshlrev_b32_e32 v72, 30, v3
	v_lshlrev_b32_e32 v73, 29, v3
	;; [unrolled: 1-line block ×4, first 2 shown]
	v_add_co_u32 v71, s24, v71, -1
	s_delay_alu instid0(VALU_DEP_1)
	v_cndmask_b32_e64 v75, 0, 1, s24
	v_not_b32_e32 v79, v72
	v_cmp_gt_i32_e64 s25, 0, v72
	v_not_b32_e32 v72, v73
	v_lshlrev_b32_e32 v77, 26, v3
	v_cmp_ne_u32_e64 s24, 0, v75
	v_ashrrev_i32_e32 v79, 31, v79
	v_lshlrev_b32_e32 v78, 25, v3
	v_ashrrev_i32_e32 v72, 31, v72
	v_lshlrev_b32_e32 v75, 24, v3
	v_xor_b32_e32 v71, s24, v71
	v_cmp_gt_i32_e64 s24, 0, v73
	v_not_b32_e32 v73, v74
	v_xor_b32_e32 v79, s25, v79
	v_cmp_gt_i32_e64 s25, 0, v74
	v_and_b32_e32 v71, exec_lo, v71
	v_not_b32_e32 v74, v76
	v_ashrrev_i32_e32 v73, 31, v73
	v_xor_b32_e32 v72, s24, v72
	v_cmp_gt_i32_e64 s24, 0, v76
	v_and_b32_e32 v71, v71, v79
	v_not_b32_e32 v76, v77
	v_ashrrev_i32_e32 v74, 31, v74
	v_xor_b32_e32 v73, s25, v73
	v_cmp_gt_i32_e64 s25, 0, v77
	v_and_b32_e32 v71, v71, v72
	;; [unrolled: 5-line block ×3, first 2 shown]
	v_not_b32_e32 v73, v75
	v_ashrrev_i32_e32 v72, 31, v72
	v_xor_b32_e32 v76, s25, v76
	v_lshl_add_u32 v3, v3, 4, v3
	v_and_b32_e32 v71, v71, v74
	v_cmp_gt_i32_e64 s25, 0, v75
	v_ashrrev_i32_e32 v73, 31, v73
	v_xor_b32_e32 v72, s24, v72
	v_add_lshl_u32 v74, v2, v3, 2
	v_and_b32_e32 v71, v71, v76
	s_delay_alu instid0(VALU_DEP_4) | instskip(NEXT) | instid1(VALU_DEP_2)
	v_xor_b32_e32 v3, s25, v73
	v_and_b32_e32 v71, v71, v72
	ds_load_b32 v72, v74 offset:64
	; wave barrier
	v_and_b32_e32 v3, v71, v3
	s_delay_alu instid0(VALU_DEP_1) | instskip(SKIP_1) | instid1(VALU_DEP_2)
	v_mbcnt_lo_u32_b32 v73, v3, 0
	v_cmp_ne_u32_e64 s25, 0, v3
	v_cmp_eq_u32_e64 s24, 0, v73
	s_delay_alu instid0(VALU_DEP_1) | instskip(NEXT) | instid1(SALU_CYCLE_1)
	s_and_b32 s25, s25, s24
	s_and_saveexec_b32 s24, s25
	s_cbranch_execz .LBB25_75
; %bb.74:
	s_waitcnt lgkmcnt(0)
	v_bcnt_u32_b32 v3, v3, v72
	ds_store_b32 v74, v3 offset:64
.LBB25_75:
	s_or_b32 exec_lo, exec_lo, s24
	v_xor_b32_e32 v71, 0x80000000, v42
	; wave barrier
	s_delay_alu instid0(VALU_DEP_1) | instskip(NEXT) | instid1(VALU_DEP_1)
	v_lshrrev_b32_e32 v3, s64, v71
	v_and_b32_e32 v3, s51, v3
	s_delay_alu instid0(VALU_DEP_1)
	v_and_b32_e32 v42, 1, v3
	v_lshlrev_b32_e32 v75, 30, v3
	v_lshlrev_b32_e32 v76, 29, v3
	;; [unrolled: 1-line block ×4, first 2 shown]
	v_add_co_u32 v42, s24, v42, -1
	s_delay_alu instid0(VALU_DEP_1)
	v_cndmask_b32_e64 v78, 0, 1, s24
	v_not_b32_e32 v82, v75
	v_cmp_gt_i32_e64 s25, 0, v75
	v_not_b32_e32 v75, v76
	v_lshlrev_b32_e32 v80, 26, v3
	v_cmp_ne_u32_e64 s24, 0, v78
	v_ashrrev_i32_e32 v82, 31, v82
	v_lshlrev_b32_e32 v81, 25, v3
	v_ashrrev_i32_e32 v75, 31, v75
	v_lshlrev_b32_e32 v78, 24, v3
	v_xor_b32_e32 v42, s24, v42
	v_cmp_gt_i32_e64 s24, 0, v76
	v_not_b32_e32 v76, v77
	v_xor_b32_e32 v82, s25, v82
	v_cmp_gt_i32_e64 s25, 0, v77
	v_and_b32_e32 v42, exec_lo, v42
	v_not_b32_e32 v77, v79
	v_ashrrev_i32_e32 v76, 31, v76
	v_xor_b32_e32 v75, s24, v75
	v_cmp_gt_i32_e64 s24, 0, v79
	v_and_b32_e32 v42, v42, v82
	v_not_b32_e32 v79, v80
	v_ashrrev_i32_e32 v77, 31, v77
	v_xor_b32_e32 v76, s25, v76
	v_cmp_gt_i32_e64 s25, 0, v80
	v_and_b32_e32 v42, v42, v75
	;; [unrolled: 5-line block ×3, first 2 shown]
	v_not_b32_e32 v76, v78
	v_ashrrev_i32_e32 v75, 31, v75
	v_xor_b32_e32 v79, s25, v79
	v_lshl_add_u32 v3, v3, 4, v3
	v_and_b32_e32 v42, v42, v77
	v_cmp_gt_i32_e64 s25, 0, v78
	v_ashrrev_i32_e32 v76, 31, v76
	v_xor_b32_e32 v75, s24, v75
	v_add_lshl_u32 v77, v2, v3, 2
	v_and_b32_e32 v42, v42, v79
	s_delay_alu instid0(VALU_DEP_4) | instskip(NEXT) | instid1(VALU_DEP_2)
	v_xor_b32_e32 v3, s25, v76
	v_and_b32_e32 v75, v42, v75
	ds_load_b32 v42, v77 offset:64
	; wave barrier
	v_and_b32_e32 v3, v75, v3
	s_delay_alu instid0(VALU_DEP_1) | instskip(SKIP_1) | instid1(VALU_DEP_2)
	v_mbcnt_lo_u32_b32 v76, v3, 0
	v_cmp_ne_u32_e64 s25, 0, v3
	v_cmp_eq_u32_e64 s24, 0, v76
	s_delay_alu instid0(VALU_DEP_1) | instskip(NEXT) | instid1(SALU_CYCLE_1)
	s_and_b32 s25, s25, s24
	s_and_saveexec_b32 s24, s25
	s_cbranch_execz .LBB25_77
; %bb.76:
	s_waitcnt lgkmcnt(0)
	v_bcnt_u32_b32 v3, v3, v42
	ds_store_b32 v77, v3 offset:64
.LBB25_77:
	s_or_b32 exec_lo, exec_lo, s24
	v_xor_b32_e32 v75, 0x80000000, v9
	; wave barrier
	s_delay_alu instid0(VALU_DEP_1) | instskip(NEXT) | instid1(VALU_DEP_1)
	v_lshrrev_b32_e32 v3, s64, v75
	v_and_b32_e32 v3, s51, v3
	s_delay_alu instid0(VALU_DEP_1)
	v_and_b32_e32 v9, 1, v3
	v_lshlrev_b32_e32 v78, 30, v3
	v_lshlrev_b32_e32 v79, 29, v3
	;; [unrolled: 1-line block ×4, first 2 shown]
	v_add_co_u32 v9, s24, v9, -1
	s_delay_alu instid0(VALU_DEP_1)
	v_cndmask_b32_e64 v81, 0, 1, s24
	v_not_b32_e32 v85, v78
	v_cmp_gt_i32_e64 s25, 0, v78
	v_not_b32_e32 v78, v79
	v_lshlrev_b32_e32 v83, 26, v3
	v_cmp_ne_u32_e64 s24, 0, v81
	v_ashrrev_i32_e32 v85, 31, v85
	v_lshlrev_b32_e32 v84, 25, v3
	v_ashrrev_i32_e32 v78, 31, v78
	v_lshlrev_b32_e32 v81, 24, v3
	v_xor_b32_e32 v9, s24, v9
	v_cmp_gt_i32_e64 s24, 0, v79
	v_not_b32_e32 v79, v80
	v_xor_b32_e32 v85, s25, v85
	v_cmp_gt_i32_e64 s25, 0, v80
	v_and_b32_e32 v9, exec_lo, v9
	v_not_b32_e32 v80, v82
	v_ashrrev_i32_e32 v79, 31, v79
	v_xor_b32_e32 v78, s24, v78
	v_cmp_gt_i32_e64 s24, 0, v82
	v_and_b32_e32 v9, v9, v85
	v_not_b32_e32 v82, v83
	v_ashrrev_i32_e32 v80, 31, v80
	v_xor_b32_e32 v79, s25, v79
	v_cmp_gt_i32_e64 s25, 0, v83
	v_and_b32_e32 v9, v9, v78
	;; [unrolled: 5-line block ×3, first 2 shown]
	v_not_b32_e32 v79, v81
	v_ashrrev_i32_e32 v78, 31, v78
	v_xor_b32_e32 v82, s25, v82
	v_lshl_add_u32 v3, v3, 4, v3
	v_and_b32_e32 v9, v9, v80
	v_cmp_gt_i32_e64 s25, 0, v81
	v_ashrrev_i32_e32 v79, 31, v79
	v_xor_b32_e32 v78, s24, v78
	v_add_lshl_u32 v81, v2, v3, 2
	v_and_b32_e32 v9, v9, v82
	s_delay_alu instid0(VALU_DEP_4) | instskip(SKIP_2) | instid1(VALU_DEP_1)
	v_xor_b32_e32 v3, s25, v79
	ds_load_b32 v79, v81 offset:64
	v_and_b32_e32 v9, v9, v78
	; wave barrier
	v_and_b32_e32 v3, v9, v3
	s_delay_alu instid0(VALU_DEP_1) | instskip(SKIP_1) | instid1(VALU_DEP_2)
	v_mbcnt_lo_u32_b32 v80, v3, 0
	v_cmp_ne_u32_e64 s25, 0, v3
	v_cmp_eq_u32_e64 s24, 0, v80
	s_delay_alu instid0(VALU_DEP_1) | instskip(NEXT) | instid1(SALU_CYCLE_1)
	s_and_b32 s25, s25, s24
	s_and_saveexec_b32 s24, s25
	s_cbranch_execz .LBB25_79
; %bb.78:
	s_waitcnt lgkmcnt(0)
	v_bcnt_u32_b32 v3, v3, v79
	ds_store_b32 v81, v3 offset:64
.LBB25_79:
	s_or_b32 exec_lo, exec_lo, s24
	v_xor_b32_e32 v78, 0x80000000, v8
	; wave barrier
	s_delay_alu instid0(VALU_DEP_1) | instskip(NEXT) | instid1(VALU_DEP_1)
	v_lshrrev_b32_e32 v3, s64, v78
	v_and_b32_e32 v3, s51, v3
	s_delay_alu instid0(VALU_DEP_1)
	v_and_b32_e32 v8, 1, v3
	v_lshlrev_b32_e32 v9, 30, v3
	v_lshlrev_b32_e32 v82, 29, v3
	;; [unrolled: 1-line block ×4, first 2 shown]
	v_add_co_u32 v8, s24, v8, -1
	s_delay_alu instid0(VALU_DEP_1)
	v_cndmask_b32_e64 v84, 0, 1, s24
	v_not_b32_e32 v88, v9
	v_cmp_gt_i32_e64 s25, 0, v9
	v_not_b32_e32 v9, v82
	v_lshlrev_b32_e32 v86, 26, v3
	v_cmp_ne_u32_e64 s24, 0, v84
	v_ashrrev_i32_e32 v88, 31, v88
	v_lshlrev_b32_e32 v87, 25, v3
	v_ashrrev_i32_e32 v9, 31, v9
	v_lshlrev_b32_e32 v84, 24, v3
	v_xor_b32_e32 v8, s24, v8
	v_cmp_gt_i32_e64 s24, 0, v82
	v_not_b32_e32 v82, v83
	v_xor_b32_e32 v88, s25, v88
	v_cmp_gt_i32_e64 s25, 0, v83
	v_and_b32_e32 v8, exec_lo, v8
	v_not_b32_e32 v83, v85
	v_ashrrev_i32_e32 v82, 31, v82
	v_xor_b32_e32 v9, s24, v9
	v_cmp_gt_i32_e64 s24, 0, v85
	v_and_b32_e32 v8, v8, v88
	v_not_b32_e32 v85, v86
	v_ashrrev_i32_e32 v83, 31, v83
	v_xor_b32_e32 v82, s25, v82
	v_cmp_gt_i32_e64 s25, 0, v86
	v_and_b32_e32 v8, v8, v9
	;; [unrolled: 5-line block ×3, first 2 shown]
	v_not_b32_e32 v82, v84
	v_ashrrev_i32_e32 v9, 31, v9
	v_xor_b32_e32 v85, s25, v85
	v_lshl_add_u32 v3, v3, 4, v3
	v_and_b32_e32 v8, v8, v83
	v_cmp_gt_i32_e64 s25, 0, v84
	v_ashrrev_i32_e32 v82, 31, v82
	v_xor_b32_e32 v9, s24, v9
	s_delay_alu instid0(VALU_DEP_4) | instskip(SKIP_1) | instid1(VALU_DEP_4)
	v_and_b32_e32 v8, v8, v85
	v_add_lshl_u32 v85, v2, v3, 2
	v_xor_b32_e32 v3, s25, v82
	s_delay_alu instid0(VALU_DEP_3) | instskip(SKIP_2) | instid1(VALU_DEP_1)
	v_and_b32_e32 v8, v8, v9
	ds_load_b32 v83, v85 offset:64
	; wave barrier
	v_and_b32_e32 v3, v8, v3
	v_mbcnt_lo_u32_b32 v84, v3, 0
	v_cmp_ne_u32_e64 s25, 0, v3
	s_delay_alu instid0(VALU_DEP_2) | instskip(NEXT) | instid1(VALU_DEP_1)
	v_cmp_eq_u32_e64 s24, 0, v84
	s_and_b32 s25, s25, s24
	s_delay_alu instid0(SALU_CYCLE_1)
	s_and_saveexec_b32 s24, s25
	s_cbranch_execz .LBB25_81
; %bb.80:
	s_waitcnt lgkmcnt(0)
	v_bcnt_u32_b32 v3, v3, v83
	ds_store_b32 v85, v3 offset:64
.LBB25_81:
	s_or_b32 exec_lo, exec_lo, s24
	v_xor_b32_e32 v82, 0x80000000, v7
	; wave barrier
	s_delay_alu instid0(VALU_DEP_1) | instskip(NEXT) | instid1(VALU_DEP_1)
	v_lshrrev_b32_e32 v3, s64, v82
	v_and_b32_e32 v3, s51, v3
	s_delay_alu instid0(VALU_DEP_1)
	v_and_b32_e32 v7, 1, v3
	v_lshlrev_b32_e32 v8, 30, v3
	v_lshlrev_b32_e32 v9, 29, v3
	;; [unrolled: 1-line block ×4, first 2 shown]
	v_add_co_u32 v7, s24, v7, -1
	s_delay_alu instid0(VALU_DEP_1)
	v_cndmask_b32_e64 v87, 0, 1, s24
	v_not_b32_e32 v91, v8
	v_cmp_gt_i32_e64 s25, 0, v8
	v_not_b32_e32 v8, v9
	v_lshlrev_b32_e32 v89, 26, v3
	v_cmp_ne_u32_e64 s24, 0, v87
	v_ashrrev_i32_e32 v91, 31, v91
	v_lshlrev_b32_e32 v90, 25, v3
	v_ashrrev_i32_e32 v8, 31, v8
	v_lshlrev_b32_e32 v87, 24, v3
	v_xor_b32_e32 v7, s24, v7
	v_cmp_gt_i32_e64 s24, 0, v9
	v_not_b32_e32 v9, v86
	v_xor_b32_e32 v91, s25, v91
	v_cmp_gt_i32_e64 s25, 0, v86
	v_and_b32_e32 v7, exec_lo, v7
	v_not_b32_e32 v86, v88
	v_ashrrev_i32_e32 v9, 31, v9
	v_xor_b32_e32 v8, s24, v8
	v_cmp_gt_i32_e64 s24, 0, v88
	v_and_b32_e32 v7, v7, v91
	v_not_b32_e32 v88, v89
	v_ashrrev_i32_e32 v86, 31, v86
	v_xor_b32_e32 v9, s25, v9
	v_cmp_gt_i32_e64 s25, 0, v89
	v_and_b32_e32 v7, v7, v8
	;; [unrolled: 5-line block ×3, first 2 shown]
	v_not_b32_e32 v9, v87
	v_ashrrev_i32_e32 v8, 31, v8
	v_xor_b32_e32 v88, s25, v88
	v_lshl_add_u32 v3, v3, 4, v3
	v_and_b32_e32 v7, v7, v86
	v_cmp_gt_i32_e64 s25, 0, v87
	v_ashrrev_i32_e32 v9, 31, v9
	v_xor_b32_e32 v8, s24, v8
	v_add_lshl_u32 v89, v2, v3, 2
	v_and_b32_e32 v7, v7, v88
	s_delay_alu instid0(VALU_DEP_4) | instskip(SKIP_2) | instid1(VALU_DEP_1)
	v_xor_b32_e32 v3, s25, v9
	ds_load_b32 v87, v89 offset:64
	v_and_b32_e32 v7, v7, v8
	; wave barrier
	v_and_b32_e32 v3, v7, v3
	s_delay_alu instid0(VALU_DEP_1) | instskip(SKIP_1) | instid1(VALU_DEP_2)
	v_mbcnt_lo_u32_b32 v88, v3, 0
	v_cmp_ne_u32_e64 s25, 0, v3
	v_cmp_eq_u32_e64 s24, 0, v88
	s_delay_alu instid0(VALU_DEP_1) | instskip(NEXT) | instid1(SALU_CYCLE_1)
	s_and_b32 s25, s25, s24
	s_and_saveexec_b32 s24, s25
	s_cbranch_execz .LBB25_83
; %bb.82:
	s_waitcnt lgkmcnt(0)
	v_bcnt_u32_b32 v3, v3, v87
	ds_store_b32 v89, v3 offset:64
.LBB25_83:
	s_or_b32 exec_lo, exec_lo, s24
	v_xor_b32_e32 v86, 0x80000000, v6
	; wave barrier
	s_delay_alu instid0(VALU_DEP_1) | instskip(NEXT) | instid1(VALU_DEP_1)
	v_lshrrev_b32_e32 v3, s64, v86
	v_and_b32_e32 v3, s51, v3
	s_delay_alu instid0(VALU_DEP_1)
	v_and_b32_e32 v6, 1, v3
	v_lshlrev_b32_e32 v7, 30, v3
	v_lshlrev_b32_e32 v8, 29, v3
	;; [unrolled: 1-line block ×4, first 2 shown]
	v_add_co_u32 v6, s24, v6, -1
	s_delay_alu instid0(VALU_DEP_1)
	v_cndmask_b32_e64 v90, 0, 1, s24
	v_not_b32_e32 v94, v7
	v_cmp_gt_i32_e64 s25, 0, v7
	v_not_b32_e32 v7, v8
	v_lshlrev_b32_e32 v92, 26, v3
	v_cmp_ne_u32_e64 s24, 0, v90
	v_ashrrev_i32_e32 v94, 31, v94
	v_lshlrev_b32_e32 v93, 25, v3
	v_ashrrev_i32_e32 v7, 31, v7
	v_lshlrev_b32_e32 v90, 24, v3
	v_xor_b32_e32 v6, s24, v6
	v_cmp_gt_i32_e64 s24, 0, v8
	v_not_b32_e32 v8, v9
	v_xor_b32_e32 v94, s25, v94
	v_cmp_gt_i32_e64 s25, 0, v9
	v_and_b32_e32 v6, exec_lo, v6
	v_not_b32_e32 v9, v91
	v_ashrrev_i32_e32 v8, 31, v8
	v_xor_b32_e32 v7, s24, v7
	v_cmp_gt_i32_e64 s24, 0, v91
	v_and_b32_e32 v6, v6, v94
	v_not_b32_e32 v91, v92
	v_ashrrev_i32_e32 v9, 31, v9
	v_xor_b32_e32 v8, s25, v8
	v_cmp_gt_i32_e64 s25, 0, v92
	v_and_b32_e32 v6, v6, v7
	v_not_b32_e32 v7, v93
	v_ashrrev_i32_e32 v91, 31, v91
	v_xor_b32_e32 v9, s24, v9
	v_cmp_gt_i32_e64 s24, 0, v93
	v_and_b32_e32 v6, v6, v8
	v_not_b32_e32 v8, v90
	v_ashrrev_i32_e32 v7, 31, v7
	v_xor_b32_e32 v91, s25, v91
	v_lshl_add_u32 v3, v3, 4, v3
	v_and_b32_e32 v6, v6, v9
	v_cmp_gt_i32_e64 s25, 0, v90
	v_ashrrev_i32_e32 v8, 31, v8
	v_xor_b32_e32 v7, s24, v7
	v_add_lshl_u32 v93, v2, v3, 2
	v_and_b32_e32 v6, v6, v91
	s_delay_alu instid0(VALU_DEP_4) | instskip(SKIP_2) | instid1(VALU_DEP_1)
	v_xor_b32_e32 v3, s25, v8
	ds_load_b32 v91, v93 offset:64
	v_and_b32_e32 v6, v6, v7
	; wave barrier
	v_and_b32_e32 v3, v6, v3
	s_delay_alu instid0(VALU_DEP_1) | instskip(SKIP_1) | instid1(VALU_DEP_2)
	v_mbcnt_lo_u32_b32 v92, v3, 0
	v_cmp_ne_u32_e64 s25, 0, v3
	v_cmp_eq_u32_e64 s24, 0, v92
	s_delay_alu instid0(VALU_DEP_1) | instskip(NEXT) | instid1(SALU_CYCLE_1)
	s_and_b32 s25, s25, s24
	s_and_saveexec_b32 s24, s25
	s_cbranch_execz .LBB25_85
; %bb.84:
	s_waitcnt lgkmcnt(0)
	v_bcnt_u32_b32 v3, v3, v91
	ds_store_b32 v93, v3 offset:64
.LBB25_85:
	s_or_b32 exec_lo, exec_lo, s24
	v_xor_b32_e32 v90, 0x80000000, v5
	; wave barrier
	s_delay_alu instid0(VALU_DEP_1) | instskip(NEXT) | instid1(VALU_DEP_1)
	v_lshrrev_b32_e32 v3, s64, v90
	v_and_b32_e32 v3, s51, v3
	s_delay_alu instid0(VALU_DEP_1)
	v_and_b32_e32 v5, 1, v3
	v_lshlrev_b32_e32 v6, 30, v3
	v_lshlrev_b32_e32 v7, 29, v3
	;; [unrolled: 1-line block ×4, first 2 shown]
	v_add_co_u32 v5, s24, v5, -1
	s_delay_alu instid0(VALU_DEP_1)
	v_cndmask_b32_e64 v9, 0, 1, s24
	v_not_b32_e32 v97, v6
	v_cmp_gt_i32_e64 s25, 0, v6
	v_not_b32_e32 v6, v7
	v_lshlrev_b32_e32 v95, 26, v3
	v_cmp_ne_u32_e64 s24, 0, v9
	v_ashrrev_i32_e32 v97, 31, v97
	v_lshlrev_b32_e32 v96, 25, v3
	v_ashrrev_i32_e32 v6, 31, v6
	v_lshlrev_b32_e32 v9, 24, v3
	v_xor_b32_e32 v5, s24, v5
	v_cmp_gt_i32_e64 s24, 0, v7
	v_not_b32_e32 v7, v8
	v_xor_b32_e32 v97, s25, v97
	v_cmp_gt_i32_e64 s25, 0, v8
	v_and_b32_e32 v5, exec_lo, v5
	v_not_b32_e32 v8, v94
	v_ashrrev_i32_e32 v7, 31, v7
	v_xor_b32_e32 v6, s24, v6
	v_cmp_gt_i32_e64 s24, 0, v94
	v_and_b32_e32 v5, v5, v97
	v_not_b32_e32 v94, v95
	v_ashrrev_i32_e32 v8, 31, v8
	v_xor_b32_e32 v7, s25, v7
	v_cmp_gt_i32_e64 s25, 0, v95
	v_and_b32_e32 v5, v5, v6
	;; [unrolled: 5-line block ×3, first 2 shown]
	v_not_b32_e32 v7, v9
	v_ashrrev_i32_e32 v6, 31, v6
	v_xor_b32_e32 v94, s25, v94
	v_lshl_add_u32 v3, v3, 4, v3
	v_and_b32_e32 v5, v5, v8
	v_cmp_gt_i32_e64 s25, 0, v9
	v_ashrrev_i32_e32 v7, 31, v7
	v_xor_b32_e32 v6, s24, v6
	v_add_lshl_u32 v97, v2, v3, 2
	v_and_b32_e32 v5, v5, v94
	s_delay_alu instid0(VALU_DEP_4) | instskip(SKIP_2) | instid1(VALU_DEP_1)
	v_xor_b32_e32 v3, s25, v7
	ds_load_b32 v95, v97 offset:64
	v_and_b32_e32 v5, v5, v6
	; wave barrier
	v_and_b32_e32 v3, v5, v3
	s_delay_alu instid0(VALU_DEP_1) | instskip(SKIP_1) | instid1(VALU_DEP_2)
	v_mbcnt_lo_u32_b32 v96, v3, 0
	v_cmp_ne_u32_e64 s25, 0, v3
	v_cmp_eq_u32_e64 s24, 0, v96
	s_delay_alu instid0(VALU_DEP_1) | instskip(NEXT) | instid1(SALU_CYCLE_1)
	s_and_b32 s25, s25, s24
	s_and_saveexec_b32 s24, s25
	s_cbranch_execz .LBB25_87
; %bb.86:
	s_waitcnt lgkmcnt(0)
	v_bcnt_u32_b32 v3, v3, v95
	ds_store_b32 v97, v3 offset:64
.LBB25_87:
	s_or_b32 exec_lo, exec_lo, s24
	v_xor_b32_e32 v94, 0x80000000, v4
	; wave barrier
	v_add_nc_u32_e32 v101, 64, v16
	s_delay_alu instid0(VALU_DEP_2) | instskip(NEXT) | instid1(VALU_DEP_1)
	v_lshrrev_b32_e32 v3, s64, v94
	v_and_b32_e32 v3, s51, v3
	s_delay_alu instid0(VALU_DEP_1)
	v_and_b32_e32 v4, 1, v3
	v_lshlrev_b32_e32 v5, 30, v3
	v_lshlrev_b32_e32 v6, 29, v3
	;; [unrolled: 1-line block ×4, first 2 shown]
	v_add_co_u32 v4, s24, v4, -1
	s_delay_alu instid0(VALU_DEP_1)
	v_cndmask_b32_e64 v8, 0, 1, s24
	v_not_b32_e32 v100, v5
	v_cmp_gt_i32_e64 s25, 0, v5
	v_not_b32_e32 v5, v6
	v_lshlrev_b32_e32 v98, 26, v3
	v_cmp_ne_u32_e64 s24, 0, v8
	v_ashrrev_i32_e32 v100, 31, v100
	v_lshlrev_b32_e32 v99, 25, v3
	v_ashrrev_i32_e32 v5, 31, v5
	v_lshlrev_b32_e32 v8, 24, v3
	v_xor_b32_e32 v4, s24, v4
	v_cmp_gt_i32_e64 s24, 0, v6
	v_not_b32_e32 v6, v7
	v_xor_b32_e32 v100, s25, v100
	v_cmp_gt_i32_e64 s25, 0, v7
	v_and_b32_e32 v4, exec_lo, v4
	v_not_b32_e32 v7, v9
	v_ashrrev_i32_e32 v6, 31, v6
	v_xor_b32_e32 v5, s24, v5
	v_cmp_gt_i32_e64 s24, 0, v9
	v_and_b32_e32 v4, v4, v100
	v_not_b32_e32 v9, v98
	v_ashrrev_i32_e32 v7, 31, v7
	v_xor_b32_e32 v6, s25, v6
	v_cmp_gt_i32_e64 s25, 0, v98
	v_and_b32_e32 v4, v4, v5
	;; [unrolled: 5-line block ×3, first 2 shown]
	v_not_b32_e32 v6, v8
	v_ashrrev_i32_e32 v5, 31, v5
	v_xor_b32_e32 v9, s25, v9
	v_lshl_add_u32 v3, v3, 4, v3
	v_and_b32_e32 v4, v4, v7
	v_cmp_gt_i32_e64 s25, 0, v8
	v_ashrrev_i32_e32 v6, 31, v6
	v_xor_b32_e32 v5, s24, v5
	v_add_lshl_u32 v100, v2, v3, 2
	v_and_b32_e32 v4, v4, v9
	s_delay_alu instid0(VALU_DEP_4) | instskip(SKIP_2) | instid1(VALU_DEP_1)
	v_xor_b32_e32 v2, s25, v6
	ds_load_b32 v98, v100 offset:64
	v_and_b32_e32 v3, v4, v5
	; wave barrier
	v_and_b32_e32 v2, v3, v2
	s_delay_alu instid0(VALU_DEP_1) | instskip(SKIP_1) | instid1(VALU_DEP_2)
	v_mbcnt_lo_u32_b32 v99, v2, 0
	v_cmp_ne_u32_e64 s25, 0, v2
	v_cmp_eq_u32_e64 s24, 0, v99
	s_delay_alu instid0(VALU_DEP_1) | instskip(NEXT) | instid1(SALU_CYCLE_1)
	s_and_b32 s25, s25, s24
	s_and_saveexec_b32 s24, s25
	s_cbranch_execz .LBB25_89
; %bb.88:
	s_waitcnt lgkmcnt(0)
	v_bcnt_u32_b32 v2, v2, v98
	ds_store_b32 v100, v2 offset:64
.LBB25_89:
	s_or_b32 exec_lo, exec_lo, s24
	; wave barrier
	s_waitcnt lgkmcnt(0)
	s_barrier
	buffer_gl0_inv
	ds_load_2addr_b32 v[8:9], v16 offset0:16 offset1:17
	ds_load_2addr_b32 v[6:7], v101 offset0:2 offset1:3
	;; [unrolled: 1-line block ×4, first 2 shown]
	ds_load_b32 v102, v101 offset:32
	v_min_u32_e32 v12, 0x1e0, v12
	s_mov_b32 s29, exec_lo
	s_delay_alu instid0(VALU_DEP_1) | instskip(SKIP_3) | instid1(VALU_DEP_1)
	v_or_b32_e32 v12, 31, v12
	s_waitcnt lgkmcnt(3)
	v_add3_u32 v103, v9, v8, v6
	s_waitcnt lgkmcnt(2)
	v_add3_u32 v103, v103, v7, v4
	s_waitcnt lgkmcnt(1)
	s_delay_alu instid0(VALU_DEP_1) | instskip(SKIP_1) | instid1(VALU_DEP_1)
	v_add3_u32 v103, v103, v5, v2
	s_waitcnt lgkmcnt(0)
	v_add3_u32 v102, v103, v3, v102
	v_and_b32_e32 v103, 15, v11
	s_delay_alu instid0(VALU_DEP_2) | instskip(NEXT) | instid1(VALU_DEP_2)
	v_mov_b32_dpp v104, v102 row_shr:1 row_mask:0xf bank_mask:0xf
	v_cmp_eq_u32_e64 s24, 0, v103
	v_cmp_lt_u32_e64 s25, 1, v103
	v_cmp_lt_u32_e64 s26, 3, v103
	;; [unrolled: 1-line block ×3, first 2 shown]
	s_delay_alu instid0(VALU_DEP_4) | instskip(NEXT) | instid1(VALU_DEP_1)
	v_cndmask_b32_e64 v104, v104, 0, s24
	v_add_nc_u32_e32 v102, v104, v102
	s_delay_alu instid0(VALU_DEP_1) | instskip(NEXT) | instid1(VALU_DEP_1)
	v_mov_b32_dpp v104, v102 row_shr:2 row_mask:0xf bank_mask:0xf
	v_cndmask_b32_e64 v104, 0, v104, s25
	s_delay_alu instid0(VALU_DEP_1) | instskip(NEXT) | instid1(VALU_DEP_1)
	v_add_nc_u32_e32 v102, v102, v104
	v_mov_b32_dpp v104, v102 row_shr:4 row_mask:0xf bank_mask:0xf
	s_delay_alu instid0(VALU_DEP_1) | instskip(NEXT) | instid1(VALU_DEP_1)
	v_cndmask_b32_e64 v104, 0, v104, s26
	v_add_nc_u32_e32 v102, v102, v104
	s_delay_alu instid0(VALU_DEP_1) | instskip(NEXT) | instid1(VALU_DEP_1)
	v_mov_b32_dpp v104, v102 row_shr:8 row_mask:0xf bank_mask:0xf
	v_cndmask_b32_e64 v103, 0, v104, s27
	v_bfe_i32 v104, v11, 4, 1
	s_delay_alu instid0(VALU_DEP_2) | instskip(SKIP_4) | instid1(VALU_DEP_2)
	v_add_nc_u32_e32 v102, v102, v103
	ds_swizzle_b32 v103, v102 offset:swizzle(BROADCAST,32,15)
	s_waitcnt lgkmcnt(0)
	v_and_b32_e32 v104, v104, v103
	v_lshrrev_b32_e32 v103, 5, v1
	v_add_nc_u32_e32 v102, v102, v104
	v_cmpx_eq_u32_e64 v12, v1
	s_cbranch_execz .LBB25_91
; %bb.90:
	s_delay_alu instid0(VALU_DEP_3)
	v_lshlrev_b32_e32 v12, 2, v103
	ds_store_b32 v12, v102
.LBB25_91:
	s_or_b32 exec_lo, exec_lo, s29
	v_lshlrev_b32_e32 v12, 2, v1
	s_mov_b32 s29, exec_lo
	s_waitcnt lgkmcnt(0)
	s_barrier
	buffer_gl0_inv
	v_cmpx_gt_u32_e32 16, v1
	s_cbranch_execz .LBB25_93
; %bb.92:
	ds_load_b32 v104, v12
	s_waitcnt lgkmcnt(0)
	v_mov_b32_dpp v105, v104 row_shr:1 row_mask:0xf bank_mask:0xf
	s_delay_alu instid0(VALU_DEP_1) | instskip(NEXT) | instid1(VALU_DEP_1)
	v_cndmask_b32_e64 v105, v105, 0, s24
	v_add_nc_u32_e32 v104, v105, v104
	s_delay_alu instid0(VALU_DEP_1) | instskip(NEXT) | instid1(VALU_DEP_1)
	v_mov_b32_dpp v105, v104 row_shr:2 row_mask:0xf bank_mask:0xf
	v_cndmask_b32_e64 v105, 0, v105, s25
	s_delay_alu instid0(VALU_DEP_1) | instskip(NEXT) | instid1(VALU_DEP_1)
	v_add_nc_u32_e32 v104, v104, v105
	v_mov_b32_dpp v105, v104 row_shr:4 row_mask:0xf bank_mask:0xf
	s_delay_alu instid0(VALU_DEP_1) | instskip(NEXT) | instid1(VALU_DEP_1)
	v_cndmask_b32_e64 v105, 0, v105, s26
	v_add_nc_u32_e32 v104, v104, v105
	s_delay_alu instid0(VALU_DEP_1) | instskip(NEXT) | instid1(VALU_DEP_1)
	v_mov_b32_dpp v105, v104 row_shr:8 row_mask:0xf bank_mask:0xf
	v_cndmask_b32_e64 v105, 0, v105, s27
	s_delay_alu instid0(VALU_DEP_1)
	v_add_nc_u32_e32 v104, v104, v105
	ds_store_b32 v12, v104
.LBB25_93:
	s_or_b32 exec_lo, exec_lo, s29
	v_mov_b32_e32 v104, 0
	s_mov_b32 s25, exec_lo
	s_waitcnt lgkmcnt(0)
	s_barrier
	buffer_gl0_inv
	v_cmpx_lt_u32_e32 31, v1
	s_cbranch_execz .LBB25_95
; %bb.94:
	v_lshl_add_u32 v103, v103, 2, -4
	ds_load_b32 v104, v103
.LBB25_95:
	s_or_b32 exec_lo, exec_lo, s25
	v_add_nc_u32_e32 v103, -1, v11
	s_waitcnt lgkmcnt(0)
	v_add_nc_u32_e32 v102, v104, v102
	s_delay_alu instid0(VALU_DEP_2) | instskip(NEXT) | instid1(VALU_DEP_1)
	v_cmp_gt_i32_e64 s24, 0, v103
	v_cndmask_b32_e64 v103, v103, v11, s24
	v_cmp_eq_u32_e64 s24, 0, v11
	s_delay_alu instid0(VALU_DEP_2) | instskip(SKIP_4) | instid1(VALU_DEP_1)
	v_lshlrev_b32_e32 v103, 2, v103
	ds_bpermute_b32 v102, v103, v102
	s_waitcnt lgkmcnt(0)
	v_cndmask_b32_e64 v102, v102, v104, s24
	v_cmp_ne_u32_e64 s24, 0, v1
	v_cndmask_b32_e64 v102, 0, v102, s24
	v_cmp_gt_u32_e64 s24, 0x100, v1
	s_delay_alu instid0(VALU_DEP_2) | instskip(NEXT) | instid1(VALU_DEP_1)
	v_add_nc_u32_e32 v8, v102, v8
	v_add_nc_u32_e32 v9, v8, v9
	s_delay_alu instid0(VALU_DEP_1) | instskip(NEXT) | instid1(VALU_DEP_1)
	v_add_nc_u32_e32 v6, v9, v6
	v_add_nc_u32_e32 v7, v6, v7
	s_delay_alu instid0(VALU_DEP_1) | instskip(NEXT) | instid1(VALU_DEP_1)
	v_add_nc_u32_e32 v4, v7, v4
	v_add_nc_u32_e32 v5, v4, v5
	s_delay_alu instid0(VALU_DEP_1) | instskip(NEXT) | instid1(VALU_DEP_1)
	v_add_nc_u32_e32 v2, v5, v2
	v_add_nc_u32_e32 v3, v2, v3
	ds_store_2addr_b32 v16, v102, v8 offset0:16 offset1:17
	ds_store_2addr_b32 v101, v9, v6 offset0:2 offset1:3
	;; [unrolled: 1-line block ×4, first 2 shown]
	ds_store_b32 v101, v3 offset:32
	s_waitcnt lgkmcnt(0)
	s_barrier
	buffer_gl0_inv
	ds_load_b32 v2, v17 offset:64
	ds_load_b32 v3, v21 offset:64
	;; [unrolled: 1-line block ×22, first 2 shown]
                                        ; implicit-def: $vgpr8
                                        ; implicit-def: $vgpr9
	s_and_saveexec_b32 s26, s24
	s_cbranch_execz .LBB25_99
; %bb.96:
	v_mul_u32_u24_e32 v8, 17, v1
	s_mov_b32 s27, exec_lo
	s_delay_alu instid0(VALU_DEP_1)
	v_dual_mov_b32 v9, 0x2c00 :: v_dual_lshlrev_b32 v16, 2, v8
	ds_load_b32 v8, v16 offset:64
	v_cmpx_ne_u32_e32 0xff, v1
	s_cbranch_execz .LBB25_98
; %bb.97:
	ds_load_b32 v9, v16 offset:132
.LBB25_98:
	s_or_b32 exec_lo, exec_lo, s27
	s_waitcnt lgkmcnt(0)
	v_sub_nc_u32_e32 v9, v9, v8
.LBB25_99:
	s_or_b32 exec_lo, exec_lo, s26
	s_waitcnt lgkmcnt(21)
	v_add_nc_u32_e32 v15, v2, v15
	s_waitcnt lgkmcnt(20)
	v_add3_u32 v16, v20, v19, v3
	s_waitcnt lgkmcnt(19)
	v_add3_u32 v17, v24, v23, v4
	;; [unrolled: 2-line block ×4, first 2 shown]
	v_lshlrev_b32_e32 v2, 2, v15
	v_lshlrev_b32_e32 v3, 2, v16
	s_waitcnt lgkmcnt(16)
	v_add3_u32 v21, v36, v35, v7
	s_waitcnt lgkmcnt(15)
	v_add3_u32 v23, v40, v39, v25
	;; [unrolled: 2-line block ×3, first 2 shown]
	s_waitcnt lgkmcnt(0)
	s_barrier
	buffer_gl0_inv
	ds_store_b32 v2, v13 offset:2048
	ds_store_b32 v3, v14 offset:2048
	v_lshlrev_b32_e32 v2, 2, v17
	v_add3_u32 v25, v50, v49, v33
	v_lshlrev_b32_e32 v3, 2, v19
	v_add3_u32 v27, v55, v54, v37
	;; [unrolled: 2-line block ×5, first 2 shown]
	ds_store_b32 v2, v18 offset:2048
	ds_store_b32 v3, v22 offset:2048
	;; [unrolled: 1-line block ×5, first 2 shown]
	v_lshlrev_b32_e32 v2, 2, v24
	v_add3_u32 v32, v69, v68, v57
	v_lshlrev_b32_e32 v3, 2, v25
	v_add3_u32 v33, v73, v72, v61
	;; [unrolled: 2-line block ×5, first 2 shown]
	ds_store_b32 v2, v38 offset:2048
	ds_store_b32 v3, v43 offset:2048
	;; [unrolled: 1-line block ×5, first 2 shown]
	v_lshlrev_b32_e32 v2, 2, v31
	v_add3_u32 v39, v88, v87, v74
	v_lshlrev_b32_e32 v3, 2, v32
	v_add3_u32 v40, v92, v91, v77
	;; [unrolled: 2-line block ×4, first 2 shown]
	v_lshlrev_b32_e32 v6, 2, v36
	ds_store_b32 v2, v56 offset:2048
	ds_store_b32 v3, v51 offset:2048
	;; [unrolled: 1-line block ×5, first 2 shown]
	v_lshlrev_b32_e32 v2, 2, v37
	v_lshlrev_b32_e32 v3, 2, v39
	;; [unrolled: 1-line block ×5, first 2 shown]
	ds_store_b32 v2, v78 offset:2048
	ds_store_b32 v3, v82 offset:2048
	;; [unrolled: 1-line block ×5, first 2 shown]
	s_waitcnt lgkmcnt(0)
	s_barrier
	buffer_gl0_inv
	s_and_saveexec_b32 s26, s24
	s_cbranch_execz .LBB25_109
; %bb.100:
	v_lshl_or_b32 v4, s15, 8, v1
	v_mov_b32_e32 v5, 0
	v_mov_b32_e32 v13, 0
	s_mov_b32 s27, 0
	s_mov_b32 s28, s15
	s_delay_alu instid0(VALU_DEP_2) | instskip(SKIP_1) | instid1(VALU_DEP_2)
	v_lshlrev_b64 v[2:3], 2, v[4:5]
	v_or_b32_e32 v4, 2.0, v9
	v_add_co_u32 v2, s25, s68, v2
	s_delay_alu instid0(VALU_DEP_1)
	v_add_co_ci_u32_e64 v3, s25, s69, v3, s25
                                        ; implicit-def: $sgpr25
	global_store_b32 v[2:3], v4, off
	s_branch .LBB25_102
	.p2align	6
.LBB25_101:                             ;   in Loop: Header=BB25_102 Depth=1
	s_or_b32 exec_lo, exec_lo, s29
	v_and_b32_e32 v6, 0x3fffffff, v14
	v_cmp_eq_u32_e64 s25, 0x80000000, v4
	s_delay_alu instid0(VALU_DEP_2) | instskip(NEXT) | instid1(VALU_DEP_2)
	v_add_nc_u32_e32 v13, v6, v13
	s_and_b32 s29, exec_lo, s25
	s_delay_alu instid0(SALU_CYCLE_1) | instskip(NEXT) | instid1(SALU_CYCLE_1)
	s_or_b32 s27, s29, s27
	s_and_not1_b32 exec_lo, exec_lo, s27
	s_cbranch_execz .LBB25_108
.LBB25_102:                             ; =>This Loop Header: Depth=1
                                        ;     Child Loop BB25_105 Depth 2
	s_or_b32 s25, s25, exec_lo
	s_cmp_eq_u32 s28, 0
	s_cbranch_scc1 .LBB25_107
; %bb.103:                              ;   in Loop: Header=BB25_102 Depth=1
	s_add_i32 s28, s28, -1
	s_mov_b32 s29, exec_lo
	v_lshl_or_b32 v4, s28, 8, v1
	s_delay_alu instid0(VALU_DEP_1) | instskip(NEXT) | instid1(VALU_DEP_1)
	v_lshlrev_b64 v[6:7], 2, v[4:5]
	v_add_co_u32 v6, s25, s68, v6
	s_delay_alu instid0(VALU_DEP_1) | instskip(SKIP_3) | instid1(VALU_DEP_1)
	v_add_co_ci_u32_e64 v7, s25, s69, v7, s25
	global_load_b32 v14, v[6:7], off glc
	s_waitcnt vmcnt(0)
	v_and_b32_e32 v4, -2.0, v14
	v_cmpx_eq_u32_e32 0, v4
	s_cbranch_execz .LBB25_101
; %bb.104:                              ;   in Loop: Header=BB25_102 Depth=1
	s_mov_b32 s30, 0
.LBB25_105:                             ;   Parent Loop BB25_102 Depth=1
                                        ; =>  This Inner Loop Header: Depth=2
	global_load_b32 v14, v[6:7], off glc
	s_waitcnt vmcnt(0)
	v_and_b32_e32 v4, -2.0, v14
	s_delay_alu instid0(VALU_DEP_1) | instskip(NEXT) | instid1(VALU_DEP_1)
	v_cmp_ne_u32_e64 s25, 0, v4
	s_or_b32 s30, s25, s30
	s_delay_alu instid0(SALU_CYCLE_1)
	s_and_not1_b32 exec_lo, exec_lo, s30
	s_cbranch_execnz .LBB25_105
; %bb.106:                              ;   in Loop: Header=BB25_102 Depth=1
	s_or_b32 exec_lo, exec_lo, s30
	s_branch .LBB25_101
.LBB25_107:                             ;   in Loop: Header=BB25_102 Depth=1
                                        ; implicit-def: $sgpr28
	s_and_b32 s29, exec_lo, s25
	s_delay_alu instid0(SALU_CYCLE_1) | instskip(NEXT) | instid1(SALU_CYCLE_1)
	s_or_b32 s27, s29, s27
	s_and_not1_b32 exec_lo, exec_lo, s27
	s_cbranch_execnz .LBB25_102
.LBB25_108:
	s_or_b32 exec_lo, exec_lo, s27
	v_add_nc_u32_e32 v4, v13, v9
	v_lshlrev_b32_e32 v5, 3, v1
	s_delay_alu instid0(VALU_DEP_2) | instskip(SKIP_3) | instid1(VALU_DEP_1)
	v_or_b32_e32 v4, 0x80000000, v4
	global_store_b32 v[2:3], v4, off
	global_load_b64 v[2:3], v5, s[60:61]
	v_sub_co_u32 v4, s25, v13, v8
	v_sub_co_ci_u32_e64 v6, null, 0, 0, s25
	s_waitcnt vmcnt(0)
	s_delay_alu instid0(VALU_DEP_2) | instskip(NEXT) | instid1(VALU_DEP_1)
	v_add_co_u32 v2, s25, v4, v2
	v_add_co_ci_u32_e64 v3, s25, v6, v3, s25
	ds_store_b64 v5, v[2:3]
.LBB25_109:
	s_or_b32 exec_lo, exec_lo, s26
	v_cmp_gt_u32_e64 s25, s48, v1
	s_waitcnt lgkmcnt(0)
	s_waitcnt_vscnt null, 0x0
	s_barrier
	buffer_gl0_inv
	s_and_saveexec_b32 s27, s25
	s_cbranch_execz .LBB25_111
; %bb.110:
	ds_load_b32 v4, v12 offset:2048
	s_waitcnt lgkmcnt(0)
	v_lshrrev_b32_e32 v2, s64, v4
	v_xor_b32_e32 v4, 0x80000000, v4
	s_delay_alu instid0(VALU_DEP_2) | instskip(NEXT) | instid1(VALU_DEP_1)
	v_and_b32_e32 v2, s51, v2
	v_lshlrev_b32_e32 v2, 3, v2
	ds_load_b64 v[2:3], v2
	s_waitcnt lgkmcnt(0)
	v_lshlrev_b64 v[2:3], 2, v[2:3]
	s_delay_alu instid0(VALU_DEP_1) | instskip(NEXT) | instid1(VALU_DEP_1)
	v_add_co_u32 v2, s26, s54, v2
	v_add_co_ci_u32_e64 v3, s26, s55, v3, s26
	s_delay_alu instid0(VALU_DEP_2) | instskip(NEXT) | instid1(VALU_DEP_1)
	v_add_co_u32 v2, s26, v2, v12
	v_add_co_ci_u32_e64 v3, s26, 0, v3, s26
	global_store_b32 v[2:3], v4, off
.LBB25_111:
	s_or_b32 exec_lo, exec_lo, s27
	v_add_nc_u32_e32 v2, 0x200, v1
	s_delay_alu instid0(VALU_DEP_1) | instskip(NEXT) | instid1(VALU_DEP_1)
	v_cmp_gt_u32_e64 s26, s48, v2
	s_and_saveexec_b32 s28, s26
	s_cbranch_execz .LBB25_113
; %bb.112:
	ds_load_b32 v4, v12 offset:4096
	s_waitcnt lgkmcnt(0)
	v_lshrrev_b32_e32 v2, s64, v4
	v_xor_b32_e32 v4, 0x80000000, v4
	s_delay_alu instid0(VALU_DEP_2) | instskip(NEXT) | instid1(VALU_DEP_1)
	v_and_b32_e32 v2, s51, v2
	v_lshlrev_b32_e32 v2, 3, v2
	ds_load_b64 v[2:3], v2
	s_waitcnt lgkmcnt(0)
	v_lshlrev_b64 v[2:3], 2, v[2:3]
	s_delay_alu instid0(VALU_DEP_1) | instskip(NEXT) | instid1(VALU_DEP_1)
	v_add_co_u32 v2, s27, s54, v2
	v_add_co_ci_u32_e64 v3, s27, s55, v3, s27
	s_delay_alu instid0(VALU_DEP_2) | instskip(NEXT) | instid1(VALU_DEP_1)
	v_add_co_u32 v2, s27, v2, v12
	v_add_co_ci_u32_e64 v3, s27, 0, v3, s27
	global_store_b32 v[2:3], v4, off offset:2048
.LBB25_113:
	s_or_b32 exec_lo, exec_lo, s28
	v_or_b32_e32 v2, 0x400, v1
	s_delay_alu instid0(VALU_DEP_1) | instskip(NEXT) | instid1(VALU_DEP_1)
	v_cmp_gt_u32_e64 s27, s48, v2
	s_and_saveexec_b32 s29, s27
	s_cbranch_execz .LBB25_115
; %bb.114:
	ds_load_b32 v5, v12 offset:6144
	v_lshlrev_b32_e32 v2, 2, v2
	s_waitcnt lgkmcnt(0)
	v_lshrrev_b32_e32 v3, s64, v5
	v_xor_b32_e32 v5, 0x80000000, v5
	s_delay_alu instid0(VALU_DEP_2) | instskip(NEXT) | instid1(VALU_DEP_1)
	v_and_b32_e32 v3, s51, v3
	v_lshlrev_b32_e32 v3, 3, v3
	ds_load_b64 v[3:4], v3
	s_waitcnt lgkmcnt(0)
	v_lshlrev_b64 v[3:4], 2, v[3:4]
	s_delay_alu instid0(VALU_DEP_1) | instskip(NEXT) | instid1(VALU_DEP_1)
	v_add_co_u32 v3, s28, s54, v3
	v_add_co_ci_u32_e64 v4, s28, s55, v4, s28
	s_delay_alu instid0(VALU_DEP_2) | instskip(NEXT) | instid1(VALU_DEP_1)
	v_add_co_u32 v2, s28, v3, v2
	v_add_co_ci_u32_e64 v3, s28, 0, v4, s28
	global_store_b32 v[2:3], v5, off
.LBB25_115:
	s_or_b32 exec_lo, exec_lo, s29
	v_add_nc_u32_e32 v2, 0x600, v1
	s_delay_alu instid0(VALU_DEP_1) | instskip(NEXT) | instid1(VALU_DEP_1)
	v_cmp_gt_u32_e64 s28, s48, v2
	s_and_saveexec_b32 s30, s28
	s_cbranch_execz .LBB25_117
; %bb.116:
	ds_load_b32 v5, v12 offset:8192
	v_lshlrev_b32_e32 v2, 2, v2
	s_waitcnt lgkmcnt(0)
	v_lshrrev_b32_e32 v3, s64, v5
	v_xor_b32_e32 v5, 0x80000000, v5
	s_delay_alu instid0(VALU_DEP_2) | instskip(NEXT) | instid1(VALU_DEP_1)
	v_and_b32_e32 v3, s51, v3
	v_lshlrev_b32_e32 v3, 3, v3
	ds_load_b64 v[3:4], v3
	s_waitcnt lgkmcnt(0)
	v_lshlrev_b64 v[3:4], 2, v[3:4]
	s_delay_alu instid0(VALU_DEP_1) | instskip(NEXT) | instid1(VALU_DEP_1)
	v_add_co_u32 v3, s29, s54, v3
	v_add_co_ci_u32_e64 v4, s29, s55, v4, s29
	s_delay_alu instid0(VALU_DEP_2) | instskip(NEXT) | instid1(VALU_DEP_1)
	v_add_co_u32 v2, s29, v3, v2
	v_add_co_ci_u32_e64 v3, s29, 0, v4, s29
	global_store_b32 v[2:3], v5, off
.LBB25_117:
	s_or_b32 exec_lo, exec_lo, s30
	v_or_b32_e32 v2, 0x800, v1
	s_delay_alu instid0(VALU_DEP_1) | instskip(NEXT) | instid1(VALU_DEP_1)
	v_cmp_gt_u32_e64 s29, s48, v2
	s_and_saveexec_b32 s31, s29
	s_cbranch_execz .LBB25_119
; %bb.118:
	ds_load_b32 v5, v12 offset:10240
	v_lshlrev_b32_e32 v2, 2, v2
	s_waitcnt lgkmcnt(0)
	v_lshrrev_b32_e32 v3, s64, v5
	v_xor_b32_e32 v5, 0x80000000, v5
	s_delay_alu instid0(VALU_DEP_2) | instskip(NEXT) | instid1(VALU_DEP_1)
	v_and_b32_e32 v3, s51, v3
	v_lshlrev_b32_e32 v3, 3, v3
	ds_load_b64 v[3:4], v3
	s_waitcnt lgkmcnt(0)
	v_lshlrev_b64 v[3:4], 2, v[3:4]
	s_delay_alu instid0(VALU_DEP_1) | instskip(NEXT) | instid1(VALU_DEP_1)
	v_add_co_u32 v3, s30, s54, v3
	v_add_co_ci_u32_e64 v4, s30, s55, v4, s30
	s_delay_alu instid0(VALU_DEP_2) | instskip(NEXT) | instid1(VALU_DEP_1)
	v_add_co_u32 v2, s30, v3, v2
	v_add_co_ci_u32_e64 v3, s30, 0, v4, s30
	global_store_b32 v[2:3], v5, off
.LBB25_119:
	s_or_b32 exec_lo, exec_lo, s31
	v_add_nc_u32_e32 v2, 0xa00, v1
	s_delay_alu instid0(VALU_DEP_1) | instskip(NEXT) | instid1(VALU_DEP_1)
	v_cmp_gt_u32_e64 s30, s48, v2
	s_and_saveexec_b32 s33, s30
	s_cbranch_execz .LBB25_121
; %bb.120:
	ds_load_b32 v5, v12 offset:12288
	v_lshlrev_b32_e32 v2, 2, v2
	s_waitcnt lgkmcnt(0)
	v_lshrrev_b32_e32 v3, s64, v5
	v_xor_b32_e32 v5, 0x80000000, v5
	s_delay_alu instid0(VALU_DEP_2) | instskip(NEXT) | instid1(VALU_DEP_1)
	v_and_b32_e32 v3, s51, v3
	v_lshlrev_b32_e32 v3, 3, v3
	ds_load_b64 v[3:4], v3
	s_waitcnt lgkmcnt(0)
	v_lshlrev_b64 v[3:4], 2, v[3:4]
	s_delay_alu instid0(VALU_DEP_1) | instskip(NEXT) | instid1(VALU_DEP_1)
	v_add_co_u32 v3, s31, s54, v3
	v_add_co_ci_u32_e64 v4, s31, s55, v4, s31
	s_delay_alu instid0(VALU_DEP_2) | instskip(NEXT) | instid1(VALU_DEP_1)
	v_add_co_u32 v2, s31, v3, v2
	v_add_co_ci_u32_e64 v3, s31, 0, v4, s31
	global_store_b32 v[2:3], v5, off
.LBB25_121:
	s_or_b32 exec_lo, exec_lo, s33
	v_or_b32_e32 v2, 0xc00, v1
	s_delay_alu instid0(VALU_DEP_1) | instskip(NEXT) | instid1(VALU_DEP_1)
	v_cmp_gt_u32_e64 s31, s48, v2
	s_and_saveexec_b32 s34, s31
	s_cbranch_execz .LBB25_123
; %bb.122:
	ds_load_b32 v5, v12 offset:14336
	v_lshlrev_b32_e32 v2, 2, v2
	s_waitcnt lgkmcnt(0)
	v_lshrrev_b32_e32 v3, s64, v5
	v_xor_b32_e32 v5, 0x80000000, v5
	s_delay_alu instid0(VALU_DEP_2) | instskip(NEXT) | instid1(VALU_DEP_1)
	v_and_b32_e32 v3, s51, v3
	v_lshlrev_b32_e32 v3, 3, v3
	ds_load_b64 v[3:4], v3
	s_waitcnt lgkmcnt(0)
	v_lshlrev_b64 v[3:4], 2, v[3:4]
	s_delay_alu instid0(VALU_DEP_1) | instskip(NEXT) | instid1(VALU_DEP_1)
	v_add_co_u32 v3, s33, s54, v3
	v_add_co_ci_u32_e64 v4, s33, s55, v4, s33
	s_delay_alu instid0(VALU_DEP_2) | instskip(NEXT) | instid1(VALU_DEP_1)
	v_add_co_u32 v2, s33, v3, v2
	v_add_co_ci_u32_e64 v3, s33, 0, v4, s33
	global_store_b32 v[2:3], v5, off
.LBB25_123:
	s_or_b32 exec_lo, exec_lo, s34
	v_add_nc_u32_e32 v2, 0xe00, v1
	s_delay_alu instid0(VALU_DEP_1) | instskip(NEXT) | instid1(VALU_DEP_1)
	v_cmp_gt_u32_e64 s33, s48, v2
	s_and_saveexec_b32 s35, s33
	s_cbranch_execz .LBB25_125
; %bb.124:
	ds_load_b32 v5, v12 offset:16384
	v_lshlrev_b32_e32 v2, 2, v2
	s_waitcnt lgkmcnt(0)
	v_lshrrev_b32_e32 v3, s64, v5
	v_xor_b32_e32 v5, 0x80000000, v5
	s_delay_alu instid0(VALU_DEP_2) | instskip(NEXT) | instid1(VALU_DEP_1)
	v_and_b32_e32 v3, s51, v3
	v_lshlrev_b32_e32 v3, 3, v3
	ds_load_b64 v[3:4], v3
	s_waitcnt lgkmcnt(0)
	v_lshlrev_b64 v[3:4], 2, v[3:4]
	s_delay_alu instid0(VALU_DEP_1) | instskip(NEXT) | instid1(VALU_DEP_1)
	v_add_co_u32 v3, s34, s54, v3
	v_add_co_ci_u32_e64 v4, s34, s55, v4, s34
	s_delay_alu instid0(VALU_DEP_2) | instskip(NEXT) | instid1(VALU_DEP_1)
	v_add_co_u32 v2, s34, v3, v2
	v_add_co_ci_u32_e64 v3, s34, 0, v4, s34
	global_store_b32 v[2:3], v5, off
.LBB25_125:
	s_or_b32 exec_lo, exec_lo, s35
	v_or_b32_e32 v4, 0x1000, v1
	s_delay_alu instid0(VALU_DEP_1) | instskip(NEXT) | instid1(VALU_DEP_1)
	v_cmp_gt_u32_e64 s34, s48, v4
	s_and_saveexec_b32 s36, s34
	s_cbranch_execz .LBB25_127
; %bb.126:
	ds_load_b32 v5, v12 offset:18432
	v_lshlrev_b32_e32 v6, 2, v4
	s_waitcnt lgkmcnt(0)
	v_lshrrev_b32_e32 v2, s64, v5
	v_xor_b32_e32 v5, 0x80000000, v5
	s_delay_alu instid0(VALU_DEP_2) | instskip(NEXT) | instid1(VALU_DEP_1)
	v_and_b32_e32 v2, s51, v2
	v_lshlrev_b32_e32 v2, 3, v2
	ds_load_b64 v[2:3], v2
	s_waitcnt lgkmcnt(0)
	v_lshlrev_b64 v[2:3], 2, v[2:3]
	s_delay_alu instid0(VALU_DEP_1) | instskip(NEXT) | instid1(VALU_DEP_1)
	v_add_co_u32 v2, s35, s54, v2
	v_add_co_ci_u32_e64 v3, s35, s55, v3, s35
	s_delay_alu instid0(VALU_DEP_2) | instskip(NEXT) | instid1(VALU_DEP_1)
	v_add_co_u32 v2, s35, v2, v6
	v_add_co_ci_u32_e64 v3, s35, 0, v3, s35
	global_store_b32 v[2:3], v5, off
.LBB25_127:
	s_or_b32 exec_lo, exec_lo, s36
	v_add_nc_u32_e32 v5, 0x1200, v1
	s_delay_alu instid0(VALU_DEP_1) | instskip(NEXT) | instid1(VALU_DEP_1)
	v_cmp_gt_u32_e64 s35, s48, v5
	s_and_saveexec_b32 s37, s35
	s_cbranch_execz .LBB25_129
; %bb.128:
	ds_load_b32 v6, v12 offset:20480
	v_lshlrev_b32_e32 v7, 2, v5
	s_waitcnt lgkmcnt(0)
	v_lshrrev_b32_e32 v2, s64, v6
	v_xor_b32_e32 v6, 0x80000000, v6
	s_delay_alu instid0(VALU_DEP_2) | instskip(NEXT) | instid1(VALU_DEP_1)
	v_and_b32_e32 v2, s51, v2
	v_lshlrev_b32_e32 v2, 3, v2
	ds_load_b64 v[2:3], v2
	s_waitcnt lgkmcnt(0)
	v_lshlrev_b64 v[2:3], 2, v[2:3]
	s_delay_alu instid0(VALU_DEP_1) | instskip(NEXT) | instid1(VALU_DEP_1)
	v_add_co_u32 v2, s36, s54, v2
	v_add_co_ci_u32_e64 v3, s36, s55, v3, s36
	s_delay_alu instid0(VALU_DEP_2) | instskip(NEXT) | instid1(VALU_DEP_1)
	v_add_co_u32 v2, s36, v2, v7
	v_add_co_ci_u32_e64 v3, s36, 0, v3, s36
	global_store_b32 v[2:3], v6, off
.LBB25_129:
	s_or_b32 exec_lo, exec_lo, s37
	v_or_b32_e32 v6, 0x1400, v1
	s_delay_alu instid0(VALU_DEP_1) | instskip(NEXT) | instid1(VALU_DEP_1)
	v_cmp_gt_u32_e64 s36, s48, v6
	s_and_saveexec_b32 s38, s36
	s_cbranch_execz .LBB25_131
; %bb.130:
	ds_load_b32 v7, v12 offset:22528
	v_lshlrev_b32_e32 v13, 2, v6
	s_waitcnt lgkmcnt(0)
	v_lshrrev_b32_e32 v2, s64, v7
	v_xor_b32_e32 v7, 0x80000000, v7
	s_delay_alu instid0(VALU_DEP_2) | instskip(NEXT) | instid1(VALU_DEP_1)
	v_and_b32_e32 v2, s51, v2
	v_lshlrev_b32_e32 v2, 3, v2
	ds_load_b64 v[2:3], v2
	s_waitcnt lgkmcnt(0)
	v_lshlrev_b64 v[2:3], 2, v[2:3]
	s_delay_alu instid0(VALU_DEP_1) | instskip(NEXT) | instid1(VALU_DEP_1)
	v_add_co_u32 v2, s37, s54, v2
	v_add_co_ci_u32_e64 v3, s37, s55, v3, s37
	s_delay_alu instid0(VALU_DEP_2) | instskip(NEXT) | instid1(VALU_DEP_1)
	v_add_co_u32 v2, s37, v2, v13
	v_add_co_ci_u32_e64 v3, s37, 0, v3, s37
	global_store_b32 v[2:3], v7, off
.LBB25_131:
	s_or_b32 exec_lo, exec_lo, s38
	v_add_nc_u32_e32 v7, 0x1600, v1
	s_delay_alu instid0(VALU_DEP_1) | instskip(NEXT) | instid1(VALU_DEP_1)
	v_cmp_gt_u32_e64 s37, s48, v7
	s_and_saveexec_b32 s39, s37
	s_cbranch_execz .LBB25_133
; %bb.132:
	ds_load_b32 v13, v12 offset:24576
	v_lshlrev_b32_e32 v14, 2, v7
	s_waitcnt lgkmcnt(0)
	v_lshrrev_b32_e32 v2, s64, v13
	v_xor_b32_e32 v13, 0x80000000, v13
	s_delay_alu instid0(VALU_DEP_2) | instskip(NEXT) | instid1(VALU_DEP_1)
	v_and_b32_e32 v2, s51, v2
	v_lshlrev_b32_e32 v2, 3, v2
	ds_load_b64 v[2:3], v2
	s_waitcnt lgkmcnt(0)
	v_lshlrev_b64 v[2:3], 2, v[2:3]
	s_delay_alu instid0(VALU_DEP_1) | instskip(NEXT) | instid1(VALU_DEP_1)
	v_add_co_u32 v2, s38, s54, v2
	v_add_co_ci_u32_e64 v3, s38, s55, v3, s38
	s_delay_alu instid0(VALU_DEP_2) | instskip(NEXT) | instid1(VALU_DEP_1)
	v_add_co_u32 v2, s38, v2, v14
	v_add_co_ci_u32_e64 v3, s38, 0, v3, s38
	global_store_b32 v[2:3], v13, off
.LBB25_133:
	s_or_b32 exec_lo, exec_lo, s39
	v_or_b32_e32 v13, 0x1800, v1
	s_delay_alu instid0(VALU_DEP_1) | instskip(NEXT) | instid1(VALU_DEP_1)
	v_cmp_gt_u32_e64 s38, s48, v13
	s_and_saveexec_b32 s40, s38
	s_cbranch_execz .LBB25_135
; %bb.134:
	ds_load_b32 v14, v12 offset:26624
	v_lshlrev_b32_e32 v18, 2, v13
	s_waitcnt lgkmcnt(0)
	v_lshrrev_b32_e32 v2, s64, v14
	v_xor_b32_e32 v14, 0x80000000, v14
	s_delay_alu instid0(VALU_DEP_2) | instskip(NEXT) | instid1(VALU_DEP_1)
	v_and_b32_e32 v2, s51, v2
	v_lshlrev_b32_e32 v2, 3, v2
	ds_load_b64 v[2:3], v2
	s_waitcnt lgkmcnt(0)
	v_lshlrev_b64 v[2:3], 2, v[2:3]
	s_delay_alu instid0(VALU_DEP_1) | instskip(NEXT) | instid1(VALU_DEP_1)
	v_add_co_u32 v2, s39, s54, v2
	v_add_co_ci_u32_e64 v3, s39, s55, v3, s39
	s_delay_alu instid0(VALU_DEP_2) | instskip(NEXT) | instid1(VALU_DEP_1)
	v_add_co_u32 v2, s39, v2, v18
	v_add_co_ci_u32_e64 v3, s39, 0, v3, s39
	global_store_b32 v[2:3], v14, off
.LBB25_135:
	s_or_b32 exec_lo, exec_lo, s40
	v_add_nc_u32_e32 v14, 0x1a00, v1
	s_delay_alu instid0(VALU_DEP_1) | instskip(NEXT) | instid1(VALU_DEP_1)
	v_cmp_gt_u32_e64 s39, s48, v14
	s_and_saveexec_b32 s41, s39
	s_cbranch_execz .LBB25_137
; %bb.136:
	ds_load_b32 v18, v12 offset:28672
	v_lshlrev_b32_e32 v22, 2, v14
	s_waitcnt lgkmcnt(0)
	v_lshrrev_b32_e32 v2, s64, v18
	v_xor_b32_e32 v18, 0x80000000, v18
	s_delay_alu instid0(VALU_DEP_2) | instskip(NEXT) | instid1(VALU_DEP_1)
	v_and_b32_e32 v2, s51, v2
	v_lshlrev_b32_e32 v2, 3, v2
	ds_load_b64 v[2:3], v2
	s_waitcnt lgkmcnt(0)
	v_lshlrev_b64 v[2:3], 2, v[2:3]
	s_delay_alu instid0(VALU_DEP_1) | instskip(NEXT) | instid1(VALU_DEP_1)
	v_add_co_u32 v2, s40, s54, v2
	v_add_co_ci_u32_e64 v3, s40, s55, v3, s40
	s_delay_alu instid0(VALU_DEP_2) | instskip(NEXT) | instid1(VALU_DEP_1)
	v_add_co_u32 v2, s40, v2, v22
	v_add_co_ci_u32_e64 v3, s40, 0, v3, s40
	global_store_b32 v[2:3], v18, off
.LBB25_137:
	s_or_b32 exec_lo, exec_lo, s41
	v_or_b32_e32 v18, 0x1c00, v1
	s_delay_alu instid0(VALU_DEP_1) | instskip(NEXT) | instid1(VALU_DEP_1)
	v_cmp_gt_u32_e64 s40, s48, v18
	s_and_saveexec_b32 s42, s40
	s_cbranch_execz .LBB25_139
; %bb.138:
	ds_load_b32 v22, v12 offset:30720
	v_lshlrev_b32_e32 v26, 2, v18
	s_waitcnt lgkmcnt(0)
	v_lshrrev_b32_e32 v2, s64, v22
	v_xor_b32_e32 v22, 0x80000000, v22
	s_delay_alu instid0(VALU_DEP_2) | instskip(NEXT) | instid1(VALU_DEP_1)
	v_and_b32_e32 v2, s51, v2
	v_lshlrev_b32_e32 v2, 3, v2
	ds_load_b64 v[2:3], v2
	s_waitcnt lgkmcnt(0)
	v_lshlrev_b64 v[2:3], 2, v[2:3]
	s_delay_alu instid0(VALU_DEP_1) | instskip(NEXT) | instid1(VALU_DEP_1)
	v_add_co_u32 v2, s41, s54, v2
	v_add_co_ci_u32_e64 v3, s41, s55, v3, s41
	s_delay_alu instid0(VALU_DEP_2) | instskip(NEXT) | instid1(VALU_DEP_1)
	v_add_co_u32 v2, s41, v2, v26
	v_add_co_ci_u32_e64 v3, s41, 0, v3, s41
	global_store_b32 v[2:3], v22, off
.LBB25_139:
	s_or_b32 exec_lo, exec_lo, s42
	v_add_nc_u32_e32 v22, 0x1e00, v1
	s_delay_alu instid0(VALU_DEP_1) | instskip(NEXT) | instid1(VALU_DEP_1)
	v_cmp_gt_u32_e64 s41, s48, v22
	s_and_saveexec_b32 s43, s41
	s_cbranch_execz .LBB25_141
; %bb.140:
	ds_load_b32 v26, v12 offset:32768
	v_lshlrev_b32_e32 v30, 2, v22
	s_waitcnt lgkmcnt(0)
	v_lshrrev_b32_e32 v2, s64, v26
	v_xor_b32_e32 v26, 0x80000000, v26
	s_delay_alu instid0(VALU_DEP_2) | instskip(NEXT) | instid1(VALU_DEP_1)
	v_and_b32_e32 v2, s51, v2
	v_lshlrev_b32_e32 v2, 3, v2
	ds_load_b64 v[2:3], v2
	s_waitcnt lgkmcnt(0)
	v_lshlrev_b64 v[2:3], 2, v[2:3]
	s_delay_alu instid0(VALU_DEP_1) | instskip(NEXT) | instid1(VALU_DEP_1)
	v_add_co_u32 v2, s42, s54, v2
	v_add_co_ci_u32_e64 v3, s42, s55, v3, s42
	s_delay_alu instid0(VALU_DEP_2) | instskip(NEXT) | instid1(VALU_DEP_1)
	v_add_co_u32 v2, s42, v2, v30
	v_add_co_ci_u32_e64 v3, s42, 0, v3, s42
	global_store_b32 v[2:3], v26, off
.LBB25_141:
	s_or_b32 exec_lo, exec_lo, s43
	v_or_b32_e32 v26, 0x2000, v1
	s_delay_alu instid0(VALU_DEP_1) | instskip(NEXT) | instid1(VALU_DEP_1)
	v_cmp_gt_u32_e64 s42, s48, v26
	s_and_saveexec_b32 s44, s42
	s_cbranch_execz .LBB25_143
; %bb.142:
	ds_load_b32 v30, v12 offset:34816
	v_lshlrev_b32_e32 v34, 2, v26
	s_waitcnt lgkmcnt(0)
	v_lshrrev_b32_e32 v2, s64, v30
	v_xor_b32_e32 v30, 0x80000000, v30
	s_delay_alu instid0(VALU_DEP_2) | instskip(NEXT) | instid1(VALU_DEP_1)
	v_and_b32_e32 v2, s51, v2
	v_lshlrev_b32_e32 v2, 3, v2
	ds_load_b64 v[2:3], v2
	s_waitcnt lgkmcnt(0)
	v_lshlrev_b64 v[2:3], 2, v[2:3]
	s_delay_alu instid0(VALU_DEP_1) | instskip(NEXT) | instid1(VALU_DEP_1)
	v_add_co_u32 v2, s43, s54, v2
	v_add_co_ci_u32_e64 v3, s43, s55, v3, s43
	s_delay_alu instid0(VALU_DEP_2) | instskip(NEXT) | instid1(VALU_DEP_1)
	v_add_co_u32 v2, s43, v2, v34
	v_add_co_ci_u32_e64 v3, s43, 0, v3, s43
	global_store_b32 v[2:3], v30, off
.LBB25_143:
	s_or_b32 exec_lo, exec_lo, s44
	v_add_nc_u32_e32 v30, 0x2200, v1
	s_delay_alu instid0(VALU_DEP_1) | instskip(NEXT) | instid1(VALU_DEP_1)
	v_cmp_gt_u32_e64 s43, s48, v30
	s_and_saveexec_b32 s45, s43
	s_cbranch_execz .LBB25_145
; %bb.144:
	ds_load_b32 v34, v12 offset:36864
	v_lshlrev_b32_e32 v38, 2, v30
	s_waitcnt lgkmcnt(0)
	v_lshrrev_b32_e32 v2, s64, v34
	v_xor_b32_e32 v34, 0x80000000, v34
	s_delay_alu instid0(VALU_DEP_2) | instskip(NEXT) | instid1(VALU_DEP_1)
	v_and_b32_e32 v2, s51, v2
	v_lshlrev_b32_e32 v2, 3, v2
	ds_load_b64 v[2:3], v2
	s_waitcnt lgkmcnt(0)
	v_lshlrev_b64 v[2:3], 2, v[2:3]
	s_delay_alu instid0(VALU_DEP_1) | instskip(NEXT) | instid1(VALU_DEP_1)
	v_add_co_u32 v2, s44, s54, v2
	v_add_co_ci_u32_e64 v3, s44, s55, v3, s44
	s_delay_alu instid0(VALU_DEP_2) | instskip(NEXT) | instid1(VALU_DEP_1)
	v_add_co_u32 v2, s44, v2, v38
	v_add_co_ci_u32_e64 v3, s44, 0, v3, s44
	global_store_b32 v[2:3], v34, off
.LBB25_145:
	s_or_b32 exec_lo, exec_lo, s45
	v_or_b32_e32 v34, 0x2400, v1
	s_delay_alu instid0(VALU_DEP_1) | instskip(NEXT) | instid1(VALU_DEP_1)
	v_cmp_gt_u32_e64 s44, s48, v34
	s_and_saveexec_b32 s46, s44
	s_cbranch_execz .LBB25_147
; %bb.146:
	ds_load_b32 v38, v12 offset:38912
	v_lshlrev_b32_e32 v43, 2, v34
	s_waitcnt lgkmcnt(0)
	v_lshrrev_b32_e32 v2, s64, v38
	v_xor_b32_e32 v38, 0x80000000, v38
	s_delay_alu instid0(VALU_DEP_2) | instskip(NEXT) | instid1(VALU_DEP_1)
	v_and_b32_e32 v2, s51, v2
	v_lshlrev_b32_e32 v2, 3, v2
	ds_load_b64 v[2:3], v2
	s_waitcnt lgkmcnt(0)
	v_lshlrev_b64 v[2:3], 2, v[2:3]
	s_delay_alu instid0(VALU_DEP_1) | instskip(NEXT) | instid1(VALU_DEP_1)
	v_add_co_u32 v2, s45, s54, v2
	v_add_co_ci_u32_e64 v3, s45, s55, v3, s45
	s_delay_alu instid0(VALU_DEP_2) | instskip(NEXT) | instid1(VALU_DEP_1)
	v_add_co_u32 v2, s45, v2, v43
	v_add_co_ci_u32_e64 v3, s45, 0, v3, s45
	global_store_b32 v[2:3], v38, off
.LBB25_147:
	s_or_b32 exec_lo, exec_lo, s46
	v_add_nc_u32_e32 v38, 0x2600, v1
	s_delay_alu instid0(VALU_DEP_1) | instskip(NEXT) | instid1(VALU_DEP_1)
	v_cmp_gt_u32_e64 s45, s48, v38
	s_and_saveexec_b32 s47, s45
	s_cbranch_execz .LBB25_149
; %bb.148:
	ds_load_b32 v43, v12 offset:40960
	v_lshlrev_b32_e32 v44, 2, v38
	s_waitcnt lgkmcnt(0)
	v_lshrrev_b32_e32 v2, s64, v43
	v_xor_b32_e32 v43, 0x80000000, v43
	s_delay_alu instid0(VALU_DEP_2) | instskip(NEXT) | instid1(VALU_DEP_1)
	v_and_b32_e32 v2, s51, v2
	v_lshlrev_b32_e32 v2, 3, v2
	ds_load_b64 v[2:3], v2
	s_waitcnt lgkmcnt(0)
	v_lshlrev_b64 v[2:3], 2, v[2:3]
	s_delay_alu instid0(VALU_DEP_1) | instskip(NEXT) | instid1(VALU_DEP_1)
	v_add_co_u32 v2, s46, s54, v2
	v_add_co_ci_u32_e64 v3, s46, s55, v3, s46
	s_delay_alu instid0(VALU_DEP_2) | instskip(NEXT) | instid1(VALU_DEP_1)
	v_add_co_u32 v2, s46, v2, v44
	v_add_co_ci_u32_e64 v3, s46, 0, v3, s46
	global_store_b32 v[2:3], v43, off
.LBB25_149:
	s_or_b32 exec_lo, exec_lo, s47
	v_or_b32_e32 v43, 0x2800, v1
	s_delay_alu instid0(VALU_DEP_1) | instskip(NEXT) | instid1(VALU_DEP_1)
	v_cmp_gt_u32_e64 s46, s48, v43
	s_and_saveexec_b32 s66, s46
	s_cbranch_execz .LBB25_151
; %bb.150:
	ds_load_b32 v44, v12 offset:43008
	v_lshlrev_b32_e32 v45, 2, v43
	s_waitcnt lgkmcnt(0)
	v_lshrrev_b32_e32 v2, s64, v44
	v_xor_b32_e32 v44, 0x80000000, v44
	s_delay_alu instid0(VALU_DEP_2) | instskip(NEXT) | instid1(VALU_DEP_1)
	v_and_b32_e32 v2, s51, v2
	v_lshlrev_b32_e32 v2, 3, v2
	ds_load_b64 v[2:3], v2
	s_waitcnt lgkmcnt(0)
	v_lshlrev_b64 v[2:3], 2, v[2:3]
	s_delay_alu instid0(VALU_DEP_1) | instskip(NEXT) | instid1(VALU_DEP_1)
	v_add_co_u32 v2, s47, s54, v2
	v_add_co_ci_u32_e64 v3, s47, s55, v3, s47
	s_delay_alu instid0(VALU_DEP_2) | instskip(NEXT) | instid1(VALU_DEP_1)
	v_add_co_u32 v2, s47, v2, v45
	v_add_co_ci_u32_e64 v3, s47, 0, v3, s47
	global_store_b32 v[2:3], v44, off
.LBB25_151:
	s_or_b32 exec_lo, exec_lo, s66
	v_add_nc_u32_e32 v44, 0x2a00, v1
	s_delay_alu instid0(VALU_DEP_1) | instskip(NEXT) | instid1(VALU_DEP_1)
	v_cmp_gt_u32_e64 s47, s48, v44
	s_and_saveexec_b32 s66, s47
	s_cbranch_execz .LBB25_153
; %bb.152:
	ds_load_b32 v45, v12 offset:45056
	v_lshlrev_b32_e32 v46, 2, v44
	s_waitcnt lgkmcnt(0)
	v_lshrrev_b32_e32 v2, s64, v45
	v_xor_b32_e32 v45, 0x80000000, v45
	s_delay_alu instid0(VALU_DEP_2) | instskip(NEXT) | instid1(VALU_DEP_1)
	v_and_b32_e32 v2, s51, v2
	v_lshlrev_b32_e32 v2, 3, v2
	ds_load_b64 v[2:3], v2
	s_waitcnt lgkmcnt(0)
	v_lshlrev_b64 v[2:3], 2, v[2:3]
	s_delay_alu instid0(VALU_DEP_1) | instskip(NEXT) | instid1(VALU_DEP_1)
	v_add_co_u32 v2, s48, s54, v2
	v_add_co_ci_u32_e64 v3, s48, s55, v3, s48
	s_delay_alu instid0(VALU_DEP_2) | instskip(NEXT) | instid1(VALU_DEP_1)
	v_add_co_u32 v2, s48, v2, v46
	v_add_co_ci_u32_e64 v3, s48, 0, v3, s48
	global_store_b32 v[2:3], v45, off
.LBB25_153:
	s_or_b32 exec_lo, exec_lo, s66
	s_add_u32 s48, s56, s50
	s_addc_u32 s66, s57, 0
	v_add_co_u32 v2, s48, s48, v11
	s_delay_alu instid0(VALU_DEP_1) | instskip(NEXT) | instid1(VALU_DEP_2)
	v_add_co_ci_u32_e64 v3, null, s66, 0, s48
	v_add_co_u32 v2, s48, v2, v10
	s_delay_alu instid0(VALU_DEP_1) | instskip(SKIP_1) | instid1(SALU_CYCLE_1)
	v_add_co_ci_u32_e64 v3, s48, 0, v3, s48
                                        ; implicit-def: $vgpr10
	s_and_saveexec_b32 s48, vcc_lo
	s_xor_b32 s48, exec_lo, s48
	s_cbranch_execnz .LBB25_297
; %bb.154:
	s_or_b32 exec_lo, exec_lo, s48
                                        ; implicit-def: $vgpr45
	s_and_saveexec_b32 s48, s2
	s_cbranch_execnz .LBB25_298
.LBB25_155:
	s_or_b32 exec_lo, exec_lo, s48
                                        ; implicit-def: $vgpr46
	s_and_saveexec_b32 s2, s3
	s_cbranch_execnz .LBB25_299
.LBB25_156:
	s_or_b32 exec_lo, exec_lo, s2
                                        ; implicit-def: $vgpr47
	s_and_saveexec_b32 s2, s4
	s_cbranch_execnz .LBB25_300
.LBB25_157:
	s_or_b32 exec_lo, exec_lo, s2
                                        ; implicit-def: $vgpr48
	s_and_saveexec_b32 s2, s5
	s_cbranch_execnz .LBB25_301
.LBB25_158:
	s_or_b32 exec_lo, exec_lo, s2
                                        ; implicit-def: $vgpr49
	s_and_saveexec_b32 s2, s6
	s_cbranch_execnz .LBB25_302
.LBB25_159:
	s_or_b32 exec_lo, exec_lo, s2
                                        ; implicit-def: $vgpr50
	s_and_saveexec_b32 s2, s7
	s_cbranch_execnz .LBB25_303
.LBB25_160:
	s_or_b32 exec_lo, exec_lo, s2
                                        ; implicit-def: $vgpr51
	s_and_saveexec_b32 s2, s8
	s_cbranch_execnz .LBB25_304
.LBB25_161:
	s_or_b32 exec_lo, exec_lo, s2
                                        ; implicit-def: $vgpr52
	s_and_saveexec_b32 s2, s9
	s_cbranch_execnz .LBB25_305
.LBB25_162:
	s_or_b32 exec_lo, exec_lo, s2
                                        ; implicit-def: $vgpr53
	s_and_saveexec_b32 s2, s10
	s_cbranch_execnz .LBB25_306
.LBB25_163:
	s_or_b32 exec_lo, exec_lo, s2
                                        ; implicit-def: $vgpr54
	s_and_saveexec_b32 s2, s11
	s_cbranch_execnz .LBB25_307
.LBB25_164:
	s_or_b32 exec_lo, exec_lo, s2
                                        ; implicit-def: $vgpr55
	s_and_saveexec_b32 s2, s12
	s_cbranch_execnz .LBB25_308
.LBB25_165:
	s_or_b32 exec_lo, exec_lo, s2
                                        ; implicit-def: $vgpr56
	s_and_saveexec_b32 s2, s13
	s_cbranch_execnz .LBB25_309
.LBB25_166:
	s_or_b32 exec_lo, exec_lo, s2
                                        ; implicit-def: $vgpr58
	s_and_saveexec_b32 s2, s14
	s_cbranch_execnz .LBB25_310
.LBB25_167:
	s_or_b32 exec_lo, exec_lo, s2
                                        ; implicit-def: $vgpr61
	s_and_saveexec_b32 s2, s16
	s_cbranch_execnz .LBB25_311
.LBB25_168:
	s_or_b32 exec_lo, exec_lo, s2
                                        ; implicit-def: $vgpr65
	s_and_saveexec_b32 s2, s17
	s_cbranch_execnz .LBB25_312
.LBB25_169:
	s_or_b32 exec_lo, exec_lo, s2
                                        ; implicit-def: $vgpr68
	s_and_saveexec_b32 s2, s18
	s_cbranch_execnz .LBB25_313
.LBB25_170:
	s_or_b32 exec_lo, exec_lo, s2
                                        ; implicit-def: $vgpr71
	s_and_saveexec_b32 s2, s19
	s_cbranch_execnz .LBB25_314
.LBB25_171:
	s_or_b32 exec_lo, exec_lo, s2
                                        ; implicit-def: $vgpr74
	s_and_saveexec_b32 s2, s20
	s_cbranch_execnz .LBB25_315
.LBB25_172:
	s_or_b32 exec_lo, exec_lo, s2
                                        ; implicit-def: $vgpr77
	s_and_saveexec_b32 s2, s21
	s_cbranch_execnz .LBB25_316
.LBB25_173:
	s_or_b32 exec_lo, exec_lo, s2
                                        ; implicit-def: $vgpr81
	s_and_saveexec_b32 s2, s22
	s_cbranch_execnz .LBB25_317
.LBB25_174:
	s_or_b32 exec_lo, exec_lo, s2
                                        ; implicit-def: $vgpr84
	s_and_saveexec_b32 s2, s23
	s_cbranch_execnz .LBB25_318
.LBB25_175:
	s_or_b32 exec_lo, exec_lo, s2
                                        ; implicit-def: $vgpr85
	s_and_saveexec_b32 s2, s25
	s_cbranch_execnz .LBB25_319
.LBB25_176:
	s_or_b32 exec_lo, exec_lo, s2
                                        ; implicit-def: $vgpr83
	s_and_saveexec_b32 s2, s26
	s_cbranch_execnz .LBB25_320
.LBB25_177:
	s_or_b32 exec_lo, exec_lo, s2
                                        ; implicit-def: $vgpr82
	s_and_saveexec_b32 s2, s27
	s_cbranch_execnz .LBB25_321
.LBB25_178:
	s_or_b32 exec_lo, exec_lo, s2
                                        ; implicit-def: $vgpr80
	s_and_saveexec_b32 s2, s28
	s_cbranch_execnz .LBB25_322
.LBB25_179:
	s_or_b32 exec_lo, exec_lo, s2
                                        ; implicit-def: $vgpr79
	s_and_saveexec_b32 s2, s29
	s_cbranch_execnz .LBB25_323
.LBB25_180:
	s_or_b32 exec_lo, exec_lo, s2
                                        ; implicit-def: $vgpr78
	s_and_saveexec_b32 s2, s30
	s_cbranch_execnz .LBB25_324
.LBB25_181:
	s_or_b32 exec_lo, exec_lo, s2
                                        ; implicit-def: $vgpr76
	s_and_saveexec_b32 s2, s31
	s_cbranch_execnz .LBB25_325
.LBB25_182:
	s_or_b32 exec_lo, exec_lo, s2
                                        ; implicit-def: $vgpr75
	s_and_saveexec_b32 s2, s33
	s_cbranch_execnz .LBB25_326
.LBB25_183:
	s_or_b32 exec_lo, exec_lo, s2
                                        ; implicit-def: $vgpr73
	s_and_saveexec_b32 s2, s34
	s_cbranch_execnz .LBB25_327
.LBB25_184:
	s_or_b32 exec_lo, exec_lo, s2
                                        ; implicit-def: $vgpr72
	s_and_saveexec_b32 s2, s35
	s_cbranch_execnz .LBB25_328
.LBB25_185:
	s_or_b32 exec_lo, exec_lo, s2
                                        ; implicit-def: $vgpr70
	s_and_saveexec_b32 s2, s36
	s_cbranch_execnz .LBB25_329
.LBB25_186:
	s_or_b32 exec_lo, exec_lo, s2
                                        ; implicit-def: $vgpr69
	s_and_saveexec_b32 s2, s37
	s_cbranch_execnz .LBB25_330
.LBB25_187:
	s_or_b32 exec_lo, exec_lo, s2
                                        ; implicit-def: $vgpr67
	s_and_saveexec_b32 s2, s38
	s_cbranch_execnz .LBB25_331
.LBB25_188:
	s_or_b32 exec_lo, exec_lo, s2
                                        ; implicit-def: $vgpr66
	s_and_saveexec_b32 s2, s39
	s_cbranch_execnz .LBB25_332
.LBB25_189:
	s_or_b32 exec_lo, exec_lo, s2
                                        ; implicit-def: $vgpr64
	s_and_saveexec_b32 s2, s40
	s_cbranch_execnz .LBB25_333
.LBB25_190:
	s_or_b32 exec_lo, exec_lo, s2
                                        ; implicit-def: $vgpr63
	s_and_saveexec_b32 s2, s41
	s_cbranch_execnz .LBB25_334
.LBB25_191:
	s_or_b32 exec_lo, exec_lo, s2
                                        ; implicit-def: $vgpr62
	s_and_saveexec_b32 s2, s42
	s_cbranch_execnz .LBB25_335
.LBB25_192:
	s_or_b32 exec_lo, exec_lo, s2
                                        ; implicit-def: $vgpr60
	s_and_saveexec_b32 s2, s43
	s_cbranch_execnz .LBB25_336
.LBB25_193:
	s_or_b32 exec_lo, exec_lo, s2
                                        ; implicit-def: $vgpr59
	s_and_saveexec_b32 s2, s44
	s_cbranch_execnz .LBB25_337
.LBB25_194:
	s_or_b32 exec_lo, exec_lo, s2
                                        ; implicit-def: $vgpr57
	s_and_saveexec_b32 s2, s45
	s_cbranch_execnz .LBB25_338
.LBB25_195:
	s_or_b32 exec_lo, exec_lo, s2
                                        ; implicit-def: $vgpr3
	s_and_saveexec_b32 s2, s46
	s_cbranch_execnz .LBB25_339
.LBB25_196:
	s_or_b32 exec_lo, exec_lo, s2
                                        ; implicit-def: $vgpr2
	s_and_saveexec_b32 s2, s47
	s_cbranch_execz .LBB25_198
.LBB25_197:
	ds_load_b32 v2, v12 offset:45056
	s_waitcnt lgkmcnt(0)
	v_lshrrev_b32_e32 v2, s64, v2
	s_delay_alu instid0(VALU_DEP_1)
	v_and_b32_e32 v2, s51, v2
.LBB25_198:
	s_or_b32 exec_lo, exec_lo, s2
	s_waitcnt vmcnt(0)
	s_waitcnt_vscnt null, 0x0
	s_barrier
	buffer_gl0_inv
	ds_store_b8 v15, v10 offset:2048
	ds_store_b8 v16, v45 offset:2048
	;; [unrolled: 1-line block ×22, first 2 shown]
	s_waitcnt lgkmcnt(0)
	s_barrier
	buffer_gl0_inv
	s_and_saveexec_b32 s2, s25
	s_cbranch_execnz .LBB25_340
; %bb.199:
	s_or_b32 exec_lo, exec_lo, s2
	s_and_saveexec_b32 s2, s26
	s_cbranch_execnz .LBB25_341
.LBB25_200:
	s_or_b32 exec_lo, exec_lo, s2
	s_and_saveexec_b32 s2, s27
	s_cbranch_execnz .LBB25_342
.LBB25_201:
	s_or_b32 exec_lo, exec_lo, s2
	s_and_saveexec_b32 s2, s28
	s_cbranch_execnz .LBB25_343
.LBB25_202:
	s_or_b32 exec_lo, exec_lo, s2
	s_and_saveexec_b32 s2, s29
	s_cbranch_execnz .LBB25_344
.LBB25_203:
	s_or_b32 exec_lo, exec_lo, s2
	s_and_saveexec_b32 s2, s30
	s_cbranch_execnz .LBB25_345
.LBB25_204:
	s_or_b32 exec_lo, exec_lo, s2
	s_and_saveexec_b32 s2, s31
	s_cbranch_execnz .LBB25_346
.LBB25_205:
	s_or_b32 exec_lo, exec_lo, s2
	s_and_saveexec_b32 s2, s33
	s_cbranch_execnz .LBB25_347
.LBB25_206:
	s_or_b32 exec_lo, exec_lo, s2
	s_and_saveexec_b32 s2, s34
	s_cbranch_execnz .LBB25_348
.LBB25_207:
	s_or_b32 exec_lo, exec_lo, s2
	s_and_saveexec_b32 s2, s35
	s_cbranch_execnz .LBB25_349
.LBB25_208:
	s_or_b32 exec_lo, exec_lo, s2
	s_and_saveexec_b32 s2, s36
	s_cbranch_execnz .LBB25_350
.LBB25_209:
	s_or_b32 exec_lo, exec_lo, s2
	s_and_saveexec_b32 s2, s37
	s_cbranch_execnz .LBB25_351
.LBB25_210:
	s_or_b32 exec_lo, exec_lo, s2
	s_and_saveexec_b32 s2, s38
	s_cbranch_execnz .LBB25_352
.LBB25_211:
	s_or_b32 exec_lo, exec_lo, s2
	s_and_saveexec_b32 s2, s39
	s_cbranch_execnz .LBB25_353
.LBB25_212:
	s_or_b32 exec_lo, exec_lo, s2
	s_and_saveexec_b32 s2, s40
	s_cbranch_execnz .LBB25_354
.LBB25_213:
	s_or_b32 exec_lo, exec_lo, s2
	s_and_saveexec_b32 s2, s41
	s_cbranch_execnz .LBB25_355
.LBB25_214:
	s_or_b32 exec_lo, exec_lo, s2
	s_and_saveexec_b32 s2, s42
	s_cbranch_execnz .LBB25_356
.LBB25_215:
	s_or_b32 exec_lo, exec_lo, s2
	s_and_saveexec_b32 s2, s43
	s_cbranch_execnz .LBB25_357
.LBB25_216:
	s_or_b32 exec_lo, exec_lo, s2
	s_and_saveexec_b32 s2, s44
	s_cbranch_execnz .LBB25_358
.LBB25_217:
	s_or_b32 exec_lo, exec_lo, s2
	s_and_saveexec_b32 s2, s45
	s_cbranch_execnz .LBB25_359
.LBB25_218:
	s_or_b32 exec_lo, exec_lo, s2
	s_and_saveexec_b32 s2, s46
	s_cbranch_execnz .LBB25_360
.LBB25_219:
	s_or_b32 exec_lo, exec_lo, s2
	s_and_saveexec_b32 s2, s47
	s_cbranch_execz .LBB25_221
.LBB25_220:
	v_lshlrev_b32_e32 v2, 3, v2
	ds_load_b64 v[2:3], v2
	ds_load_u8 v4, v1 offset:12800
	s_waitcnt lgkmcnt(1)
	v_add_co_u32 v2, vcc_lo, s58, v2
	v_add_co_ci_u32_e32 v3, vcc_lo, s59, v3, vcc_lo
	s_delay_alu instid0(VALU_DEP_2) | instskip(NEXT) | instid1(VALU_DEP_2)
	v_add_co_u32 v2, vcc_lo, v2, v44
	v_add_co_ci_u32_e32 v3, vcc_lo, 0, v3, vcc_lo
	s_waitcnt lgkmcnt(0)
	global_store_b8 v[2:3], v4, off
.LBB25_221:
	s_or_b32 exec_lo, exec_lo, s2
	s_add_i32 s49, s49, -1
	s_mov_b32 s2, 0
	s_cmp_eq_u32 s15, s49
	s_mov_b32 s4, 0
	s_cselect_b32 s3, -1, 0
                                        ; implicit-def: $vgpr5_vgpr6
	s_delay_alu instid0(SALU_CYCLE_1) | instskip(NEXT) | instid1(SALU_CYCLE_1)
	s_and_b32 s3, s24, s3
	s_and_saveexec_b32 s5, s3
	s_delay_alu instid0(SALU_CYCLE_1)
	s_xor_b32 s3, exec_lo, s5
; %bb.222:
	v_add_co_u32 v5, s5, v8, v9
	v_mov_b32_e32 v2, 0
	v_add_co_ci_u32_e64 v6, null, 0, 0, s5
	s_mov_b32 s4, exec_lo
; %bb.223:
	s_or_b32 exec_lo, exec_lo, s3
	s_delay_alu instid0(SALU_CYCLE_1)
	s_and_b32 vcc_lo, exec_lo, s2
	s_cbranch_vccnz .LBB25_225
	s_branch .LBB25_294
.LBB25_224:
	s_mov_b32 s4, 0
                                        ; implicit-def: $vgpr5_vgpr6
	s_cbranch_execz .LBB25_294
.LBB25_225:
	v_dual_mov_b32 v16, 0 :: v_dual_and_b32 v13, 0x1e0, v1
	s_mov_b32 s51, 0
	v_lshlrev_b32_e32 v2, 2, v11
	s_lshl_b64 s[2:3], s[50:51], 2
	s_delay_alu instid0(VALU_DEP_2) | instskip(SKIP_3) | instid1(VALU_DEP_2)
	v_mul_u32_u24_e32 v12, 22, v13
	s_add_u32 s2, s52, s2
	s_addc_u32 s3, s53, s3
	v_add_co_u32 v2, s2, s2, v2
	v_lshlrev_b32_e32 v3, 2, v12
	v_add_co_ci_u32_e64 v4, null, s3, 0, s2
	v_bfe_u32 v15, v0, 10, 10
	v_bfe_u32 v0, v0, 20, 10
	s_delay_alu instid0(VALU_DEP_4) | instskip(NEXT) | instid1(VALU_DEP_4)
	v_add_co_u32 v2, vcc_lo, v2, v3
	v_add_co_ci_u32_e32 v3, vcc_lo, 0, v4, vcc_lo
	global_load_b32 v10, v[2:3], off
	s_clause 0x1
	s_load_b32 s2, s[0:1], 0x5c
	s_load_b32 s5, s[0:1], 0x50
	s_add_u32 s0, s0, 0x50
	s_addc_u32 s1, s1, 0
	s_waitcnt lgkmcnt(0)
	s_lshr_b32 s2, s2, 16
	s_cmp_lt_u32 s15, s5
	v_mad_u32_u24 v0, v0, s2, v15
	s_cselect_b32 s3, 12, 18
	s_delay_alu instid0(SALU_CYCLE_1)
	s_add_u32 s0, s0, s3
	s_addc_u32 s1, s1, 0
	global_load_u16 v14, v16, s[0:1]
	s_clause 0x14
	global_load_b32 v18, v[2:3], off offset:128
	global_load_b32 v17, v[2:3], off offset:256
	;; [unrolled: 1-line block ×21, first 2 shown]
	s_lshl_b32 s0, -1, s65
	s_delay_alu instid0(SALU_CYCLE_1) | instskip(SKIP_2) | instid1(VALU_DEP_1)
	s_not_b32 s6, s0
	s_waitcnt vmcnt(22)
	v_xor_b32_e32 v10, 0x80000000, v10
	v_lshrrev_b32_e32 v3, s64, v10
	s_delay_alu instid0(VALU_DEP_1) | instskip(NEXT) | instid1(VALU_DEP_1)
	v_and_b32_e32 v3, s6, v3
	v_and_b32_e32 v19, 1, v3
	v_lshlrev_b32_e32 v20, 30, v3
	v_lshlrev_b32_e32 v22, 29, v3
	;; [unrolled: 1-line block ×4, first 2 shown]
	v_add_co_u32 v19, s0, v19, -1
	s_delay_alu instid0(VALU_DEP_1)
	v_cndmask_b32_e64 v24, 0, 1, s0
	v_not_b32_e32 v30, v20
	v_cmp_gt_i32_e64 s0, 0, v20
	v_not_b32_e32 v20, v22
	v_lshlrev_b32_e32 v27, 26, v3
	v_cmp_ne_u32_e32 vcc_lo, 0, v24
	v_ashrrev_i32_e32 v30, 31, v30
	v_lshlrev_b32_e32 v28, 25, v3
	v_ashrrev_i32_e32 v20, 31, v20
	v_lshlrev_b32_e32 v24, 24, v3
	v_xor_b32_e32 v19, vcc_lo, v19
	v_cmp_gt_i32_e32 vcc_lo, 0, v22
	v_not_b32_e32 v22, v23
	v_xor_b32_e32 v30, s0, v30
	v_cmp_gt_i32_e64 s0, 0, v23
	v_and_b32_e32 v19, exec_lo, v19
	v_not_b32_e32 v23, v26
	v_ashrrev_i32_e32 v22, 31, v22
	v_xor_b32_e32 v20, vcc_lo, v20
	v_cmp_gt_i32_e32 vcc_lo, 0, v26
	v_and_b32_e32 v19, v19, v30
	v_not_b32_e32 v26, v27
	v_ashrrev_i32_e32 v23, 31, v23
	v_xor_b32_e32 v22, s0, v22
	v_cmp_gt_i32_e64 s0, 0, v27
	v_and_b32_e32 v19, v19, v20
	v_not_b32_e32 v20, v28
	v_ashrrev_i32_e32 v26, 31, v26
	v_xor_b32_e32 v23, vcc_lo, v23
	v_cmp_gt_i32_e32 vcc_lo, 0, v28
	v_and_b32_e32 v19, v19, v22
	v_not_b32_e32 v22, v24
	v_ashrrev_i32_e32 v20, 31, v20
	v_xor_b32_e32 v26, s0, v26
	v_cmp_gt_i32_e64 s0, 0, v24
	v_and_b32_e32 v19, v19, v23
	v_ashrrev_i32_e32 v22, 31, v22
	v_xor_b32_e32 v20, vcc_lo, v20
	v_mul_u32_u24_e32 v23, 9, v1
	s_delay_alu instid0(VALU_DEP_4) | instskip(NEXT) | instid1(VALU_DEP_4)
	v_and_b32_e32 v19, v19, v26
	v_xor_b32_e32 v22, s0, v22
	s_delay_alu instid0(VALU_DEP_3)
	v_lshlrev_b32_e32 v15, 2, v23
	ds_store_2addr_b32 v15, v16, v16 offset0:16 offset1:17
	ds_store_2addr_b32 v15, v16, v16 offset0:18 offset1:19
	;; [unrolled: 1-line block ×4, first 2 shown]
	v_and_b32_e32 v24, v19, v20
	s_waitcnt vmcnt(0)
	v_mad_u64_u32 v[19:20], null, v0, v14, v[1:2]
	ds_store_b32 v15, v16 offset:96
	v_lshl_add_u32 v16, v3, 4, v3
	v_and_b32_e32 v0, v24, v22
	s_waitcnt lgkmcnt(0)
	s_waitcnt_vscnt null, 0x0
	s_barrier
	buffer_gl0_inv
	v_lshrrev_b32_e32 v3, 5, v19
	v_mbcnt_lo_u32_b32 v14, v0, 0
	v_cmp_ne_u32_e64 s0, 0, v0
	; wave barrier
	s_delay_alu instid0(VALU_DEP_3) | instskip(NEXT) | instid1(VALU_DEP_3)
	v_add_lshl_u32 v16, v3, v16, 2
	v_cmp_eq_u32_e32 vcc_lo, 0, v14
	s_delay_alu instid0(VALU_DEP_3) | instskip(NEXT) | instid1(SALU_CYCLE_1)
	s_and_b32 s1, s0, vcc_lo
	s_and_saveexec_b32 s0, s1
	s_cbranch_execz .LBB25_227
; %bb.226:
	v_bcnt_u32_b32 v0, v0, 0
	ds_store_b32 v16, v0 offset:64
.LBB25_227:
	s_or_b32 exec_lo, exec_lo, s0
	v_xor_b32_e32 v0, 0x80000000, v18
	; wave barrier
	s_delay_alu instid0(VALU_DEP_1) | instskip(NEXT) | instid1(VALU_DEP_1)
	v_lshrrev_b32_e32 v18, s64, v0
	v_and_b32_e32 v18, s6, v18
	s_delay_alu instid0(VALU_DEP_1)
	v_and_b32_e32 v19, 1, v18
	v_lshlrev_b32_e32 v20, 30, v18
	v_lshlrev_b32_e32 v22, 29, v18
	;; [unrolled: 1-line block ×4, first 2 shown]
	v_add_co_u32 v19, s0, v19, -1
	s_delay_alu instid0(VALU_DEP_1)
	v_cndmask_b32_e64 v24, 0, 1, s0
	v_not_b32_e32 v30, v20
	v_cmp_gt_i32_e64 s0, 0, v20
	v_not_b32_e32 v20, v22
	v_lshlrev_b32_e32 v27, 26, v18
	v_cmp_ne_u32_e32 vcc_lo, 0, v24
	v_ashrrev_i32_e32 v30, 31, v30
	v_lshlrev_b32_e32 v28, 25, v18
	v_ashrrev_i32_e32 v20, 31, v20
	v_lshlrev_b32_e32 v24, 24, v18
	v_xor_b32_e32 v19, vcc_lo, v19
	v_cmp_gt_i32_e32 vcc_lo, 0, v22
	v_not_b32_e32 v22, v23
	v_xor_b32_e32 v30, s0, v30
	v_cmp_gt_i32_e64 s0, 0, v23
	v_and_b32_e32 v19, exec_lo, v19
	v_not_b32_e32 v23, v26
	v_ashrrev_i32_e32 v22, 31, v22
	v_xor_b32_e32 v20, vcc_lo, v20
	v_cmp_gt_i32_e32 vcc_lo, 0, v26
	v_and_b32_e32 v19, v19, v30
	v_not_b32_e32 v26, v27
	v_ashrrev_i32_e32 v23, 31, v23
	v_xor_b32_e32 v22, s0, v22
	v_cmp_gt_i32_e64 s0, 0, v27
	v_and_b32_e32 v19, v19, v20
	v_not_b32_e32 v20, v28
	v_ashrrev_i32_e32 v26, 31, v26
	v_xor_b32_e32 v23, vcc_lo, v23
	v_cmp_gt_i32_e32 vcc_lo, 0, v28
	v_and_b32_e32 v19, v19, v22
	v_not_b32_e32 v22, v24
	v_ashrrev_i32_e32 v20, 31, v20
	v_xor_b32_e32 v26, s0, v26
	v_lshl_add_u32 v18, v18, 4, v18
	v_and_b32_e32 v19, v19, v23
	v_cmp_gt_i32_e64 s0, 0, v24
	v_ashrrev_i32_e32 v22, 31, v22
	v_xor_b32_e32 v23, vcc_lo, v20
	v_add_lshl_u32 v20, v3, v18, 2
	v_and_b32_e32 v19, v19, v26
	s_delay_alu instid0(VALU_DEP_4) | instskip(SKIP_2) | instid1(VALU_DEP_1)
	v_xor_b32_e32 v22, s0, v22
	ds_load_b32 v18, v20 offset:64
	v_and_b32_e32 v19, v19, v23
	; wave barrier
	v_and_b32_e32 v22, v19, v22
	s_delay_alu instid0(VALU_DEP_1) | instskip(SKIP_1) | instid1(VALU_DEP_2)
	v_mbcnt_lo_u32_b32 v19, v22, 0
	v_cmp_ne_u32_e64 s0, 0, v22
	v_cmp_eq_u32_e32 vcc_lo, 0, v19
	s_delay_alu instid0(VALU_DEP_2) | instskip(NEXT) | instid1(SALU_CYCLE_1)
	s_and_b32 s1, s0, vcc_lo
	s_and_saveexec_b32 s0, s1
	s_cbranch_execz .LBB25_229
; %bb.228:
	s_waitcnt lgkmcnt(0)
	v_bcnt_u32_b32 v22, v22, v18
	ds_store_b32 v20, v22 offset:64
.LBB25_229:
	s_or_b32 exec_lo, exec_lo, s0
	v_xor_b32_e32 v17, 0x80000000, v17
	; wave barrier
	s_delay_alu instid0(VALU_DEP_1) | instskip(NEXT) | instid1(VALU_DEP_1)
	v_lshrrev_b32_e32 v22, s64, v17
	v_and_b32_e32 v22, s6, v22
	s_delay_alu instid0(VALU_DEP_1)
	v_and_b32_e32 v23, 1, v22
	v_lshlrev_b32_e32 v24, 30, v22
	v_lshlrev_b32_e32 v26, 29, v22
	;; [unrolled: 1-line block ×4, first 2 shown]
	v_add_co_u32 v23, s0, v23, -1
	s_delay_alu instid0(VALU_DEP_1)
	v_cndmask_b32_e64 v28, 0, 1, s0
	v_not_b32_e32 v34, v24
	v_cmp_gt_i32_e64 s0, 0, v24
	v_not_b32_e32 v24, v26
	v_lshlrev_b32_e32 v31, 26, v22
	v_cmp_ne_u32_e32 vcc_lo, 0, v28
	v_ashrrev_i32_e32 v34, 31, v34
	v_lshlrev_b32_e32 v32, 25, v22
	v_ashrrev_i32_e32 v24, 31, v24
	v_lshlrev_b32_e32 v28, 24, v22
	v_xor_b32_e32 v23, vcc_lo, v23
	v_cmp_gt_i32_e32 vcc_lo, 0, v26
	v_not_b32_e32 v26, v27
	v_xor_b32_e32 v34, s0, v34
	v_cmp_gt_i32_e64 s0, 0, v27
	v_and_b32_e32 v23, exec_lo, v23
	v_not_b32_e32 v27, v30
	v_ashrrev_i32_e32 v26, 31, v26
	v_xor_b32_e32 v24, vcc_lo, v24
	v_cmp_gt_i32_e32 vcc_lo, 0, v30
	v_and_b32_e32 v23, v23, v34
	v_not_b32_e32 v30, v31
	v_ashrrev_i32_e32 v27, 31, v27
	v_xor_b32_e32 v26, s0, v26
	v_cmp_gt_i32_e64 s0, 0, v31
	v_and_b32_e32 v23, v23, v24
	v_not_b32_e32 v24, v32
	v_ashrrev_i32_e32 v30, 31, v30
	v_xor_b32_e32 v27, vcc_lo, v27
	v_cmp_gt_i32_e32 vcc_lo, 0, v32
	v_and_b32_e32 v23, v23, v26
	v_not_b32_e32 v26, v28
	v_ashrrev_i32_e32 v24, 31, v24
	v_xor_b32_e32 v30, s0, v30
	v_lshl_add_u32 v22, v22, 4, v22
	v_and_b32_e32 v23, v23, v27
	v_cmp_gt_i32_e64 s0, 0, v28
	v_ashrrev_i32_e32 v26, 31, v26
	v_xor_b32_e32 v27, vcc_lo, v24
	v_add_lshl_u32 v24, v3, v22, 2
	v_and_b32_e32 v23, v23, v30
	s_delay_alu instid0(VALU_DEP_4) | instskip(SKIP_2) | instid1(VALU_DEP_1)
	v_xor_b32_e32 v26, s0, v26
	ds_load_b32 v22, v24 offset:64
	v_and_b32_e32 v23, v23, v27
	; wave barrier
	v_and_b32_e32 v26, v23, v26
	s_delay_alu instid0(VALU_DEP_1) | instskip(SKIP_1) | instid1(VALU_DEP_2)
	v_mbcnt_lo_u32_b32 v23, v26, 0
	v_cmp_ne_u32_e64 s0, 0, v26
	v_cmp_eq_u32_e32 vcc_lo, 0, v23
	s_delay_alu instid0(VALU_DEP_2) | instskip(NEXT) | instid1(SALU_CYCLE_1)
	s_and_b32 s1, s0, vcc_lo
	s_and_saveexec_b32 s0, s1
	s_cbranch_execz .LBB25_231
; %bb.230:
	s_waitcnt lgkmcnt(0)
	v_bcnt_u32_b32 v26, v26, v22
	ds_store_b32 v24, v26 offset:64
.LBB25_231:
	s_or_b32 exec_lo, exec_lo, s0
	v_xor_b32_e32 v21, 0x80000000, v21
	; wave barrier
	s_delay_alu instid0(VALU_DEP_1) | instskip(NEXT) | instid1(VALU_DEP_1)
	v_lshrrev_b32_e32 v26, s64, v21
	v_and_b32_e32 v26, s6, v26
	s_delay_alu instid0(VALU_DEP_1)
	v_and_b32_e32 v27, 1, v26
	v_lshlrev_b32_e32 v28, 30, v26
	v_lshlrev_b32_e32 v30, 29, v26
	;; [unrolled: 1-line block ×4, first 2 shown]
	v_add_co_u32 v27, s0, v27, -1
	s_delay_alu instid0(VALU_DEP_1)
	v_cndmask_b32_e64 v32, 0, 1, s0
	v_not_b32_e32 v38, v28
	v_cmp_gt_i32_e64 s0, 0, v28
	v_not_b32_e32 v28, v30
	v_lshlrev_b32_e32 v35, 26, v26
	v_cmp_ne_u32_e32 vcc_lo, 0, v32
	v_ashrrev_i32_e32 v38, 31, v38
	v_lshlrev_b32_e32 v36, 25, v26
	v_ashrrev_i32_e32 v28, 31, v28
	v_lshlrev_b32_e32 v32, 24, v26
	v_xor_b32_e32 v27, vcc_lo, v27
	v_cmp_gt_i32_e32 vcc_lo, 0, v30
	v_not_b32_e32 v30, v31
	v_xor_b32_e32 v38, s0, v38
	v_cmp_gt_i32_e64 s0, 0, v31
	v_and_b32_e32 v27, exec_lo, v27
	v_not_b32_e32 v31, v34
	v_ashrrev_i32_e32 v30, 31, v30
	v_xor_b32_e32 v28, vcc_lo, v28
	v_cmp_gt_i32_e32 vcc_lo, 0, v34
	v_and_b32_e32 v27, v27, v38
	v_not_b32_e32 v34, v35
	v_ashrrev_i32_e32 v31, 31, v31
	v_xor_b32_e32 v30, s0, v30
	v_cmp_gt_i32_e64 s0, 0, v35
	v_and_b32_e32 v27, v27, v28
	v_not_b32_e32 v28, v36
	v_ashrrev_i32_e32 v34, 31, v34
	v_xor_b32_e32 v31, vcc_lo, v31
	v_cmp_gt_i32_e32 vcc_lo, 0, v36
	v_and_b32_e32 v27, v27, v30
	v_not_b32_e32 v30, v32
	v_ashrrev_i32_e32 v28, 31, v28
	v_xor_b32_e32 v34, s0, v34
	v_lshl_add_u32 v26, v26, 4, v26
	v_and_b32_e32 v27, v27, v31
	v_cmp_gt_i32_e64 s0, 0, v32
	v_ashrrev_i32_e32 v30, 31, v30
	v_xor_b32_e32 v31, vcc_lo, v28
	v_add_lshl_u32 v28, v3, v26, 2
	v_and_b32_e32 v27, v27, v34
	s_delay_alu instid0(VALU_DEP_4) | instskip(SKIP_2) | instid1(VALU_DEP_1)
	v_xor_b32_e32 v30, s0, v30
	ds_load_b32 v26, v28 offset:64
	v_and_b32_e32 v27, v27, v31
	; wave barrier
	v_and_b32_e32 v30, v27, v30
	s_delay_alu instid0(VALU_DEP_1) | instskip(SKIP_1) | instid1(VALU_DEP_2)
	v_mbcnt_lo_u32_b32 v27, v30, 0
	v_cmp_ne_u32_e64 s0, 0, v30
	v_cmp_eq_u32_e32 vcc_lo, 0, v27
	s_delay_alu instid0(VALU_DEP_2) | instskip(NEXT) | instid1(SALU_CYCLE_1)
	s_and_b32 s1, s0, vcc_lo
	s_and_saveexec_b32 s0, s1
	s_cbranch_execz .LBB25_233
; %bb.232:
	s_waitcnt lgkmcnt(0)
	v_bcnt_u32_b32 v30, v30, v26
	ds_store_b32 v28, v30 offset:64
.LBB25_233:
	s_or_b32 exec_lo, exec_lo, s0
	v_xor_b32_e32 v25, 0x80000000, v25
	; wave barrier
	s_delay_alu instid0(VALU_DEP_1) | instskip(NEXT) | instid1(VALU_DEP_1)
	v_lshrrev_b32_e32 v30, s64, v25
	v_and_b32_e32 v30, s6, v30
	s_delay_alu instid0(VALU_DEP_1)
	v_and_b32_e32 v31, 1, v30
	v_lshlrev_b32_e32 v32, 30, v30
	v_lshlrev_b32_e32 v34, 29, v30
	v_lshlrev_b32_e32 v35, 28, v30
	v_lshlrev_b32_e32 v38, 27, v30
	v_add_co_u32 v31, s0, v31, -1
	s_delay_alu instid0(VALU_DEP_1)
	v_cndmask_b32_e64 v36, 0, 1, s0
	v_not_b32_e32 v42, v32
	v_cmp_gt_i32_e64 s0, 0, v32
	v_not_b32_e32 v32, v34
	v_lshlrev_b32_e32 v39, 26, v30
	v_cmp_ne_u32_e32 vcc_lo, 0, v36
	v_ashrrev_i32_e32 v42, 31, v42
	v_lshlrev_b32_e32 v40, 25, v30
	v_ashrrev_i32_e32 v32, 31, v32
	v_lshlrev_b32_e32 v36, 24, v30
	v_xor_b32_e32 v31, vcc_lo, v31
	v_cmp_gt_i32_e32 vcc_lo, 0, v34
	v_not_b32_e32 v34, v35
	v_xor_b32_e32 v42, s0, v42
	v_cmp_gt_i32_e64 s0, 0, v35
	v_and_b32_e32 v31, exec_lo, v31
	v_not_b32_e32 v35, v38
	v_ashrrev_i32_e32 v34, 31, v34
	v_xor_b32_e32 v32, vcc_lo, v32
	v_cmp_gt_i32_e32 vcc_lo, 0, v38
	v_and_b32_e32 v31, v31, v42
	v_not_b32_e32 v38, v39
	v_ashrrev_i32_e32 v35, 31, v35
	v_xor_b32_e32 v34, s0, v34
	v_cmp_gt_i32_e64 s0, 0, v39
	v_and_b32_e32 v31, v31, v32
	v_not_b32_e32 v32, v40
	v_ashrrev_i32_e32 v38, 31, v38
	v_xor_b32_e32 v35, vcc_lo, v35
	v_cmp_gt_i32_e32 vcc_lo, 0, v40
	v_and_b32_e32 v31, v31, v34
	v_not_b32_e32 v34, v36
	v_ashrrev_i32_e32 v32, 31, v32
	v_xor_b32_e32 v38, s0, v38
	v_lshl_add_u32 v30, v30, 4, v30
	v_and_b32_e32 v31, v31, v35
	v_cmp_gt_i32_e64 s0, 0, v36
	v_ashrrev_i32_e32 v34, 31, v34
	v_xor_b32_e32 v35, vcc_lo, v32
	v_add_lshl_u32 v32, v3, v30, 2
	v_and_b32_e32 v31, v31, v38
	s_delay_alu instid0(VALU_DEP_4) | instskip(SKIP_2) | instid1(VALU_DEP_1)
	v_xor_b32_e32 v34, s0, v34
	ds_load_b32 v30, v32 offset:64
	v_and_b32_e32 v31, v31, v35
	; wave barrier
	v_and_b32_e32 v34, v31, v34
	s_delay_alu instid0(VALU_DEP_1) | instskip(SKIP_1) | instid1(VALU_DEP_2)
	v_mbcnt_lo_u32_b32 v31, v34, 0
	v_cmp_ne_u32_e64 s0, 0, v34
	v_cmp_eq_u32_e32 vcc_lo, 0, v31
	s_delay_alu instid0(VALU_DEP_2) | instskip(NEXT) | instid1(SALU_CYCLE_1)
	s_and_b32 s1, s0, vcc_lo
	s_and_saveexec_b32 s0, s1
	s_cbranch_execz .LBB25_235
; %bb.234:
	s_waitcnt lgkmcnt(0)
	v_bcnt_u32_b32 v34, v34, v30
	ds_store_b32 v32, v34 offset:64
.LBB25_235:
	s_or_b32 exec_lo, exec_lo, s0
	v_xor_b32_e32 v29, 0x80000000, v29
	; wave barrier
	s_delay_alu instid0(VALU_DEP_1) | instskip(NEXT) | instid1(VALU_DEP_1)
	v_lshrrev_b32_e32 v34, s64, v29
	v_and_b32_e32 v34, s6, v34
	s_delay_alu instid0(VALU_DEP_1)
	v_and_b32_e32 v35, 1, v34
	v_lshlrev_b32_e32 v36, 30, v34
	v_lshlrev_b32_e32 v38, 29, v34
	;; [unrolled: 1-line block ×4, first 2 shown]
	v_add_co_u32 v35, s0, v35, -1
	s_delay_alu instid0(VALU_DEP_1)
	v_cndmask_b32_e64 v40, 0, 1, s0
	v_not_b32_e32 v46, v36
	v_cmp_gt_i32_e64 s0, 0, v36
	v_not_b32_e32 v36, v38
	v_lshlrev_b32_e32 v43, 26, v34
	v_cmp_ne_u32_e32 vcc_lo, 0, v40
	v_ashrrev_i32_e32 v46, 31, v46
	v_lshlrev_b32_e32 v44, 25, v34
	v_ashrrev_i32_e32 v36, 31, v36
	v_lshlrev_b32_e32 v40, 24, v34
	v_xor_b32_e32 v35, vcc_lo, v35
	v_cmp_gt_i32_e32 vcc_lo, 0, v38
	v_not_b32_e32 v38, v39
	v_xor_b32_e32 v46, s0, v46
	v_cmp_gt_i32_e64 s0, 0, v39
	v_and_b32_e32 v35, exec_lo, v35
	v_not_b32_e32 v39, v42
	v_ashrrev_i32_e32 v38, 31, v38
	v_xor_b32_e32 v36, vcc_lo, v36
	v_cmp_gt_i32_e32 vcc_lo, 0, v42
	v_and_b32_e32 v35, v35, v46
	v_not_b32_e32 v42, v43
	v_ashrrev_i32_e32 v39, 31, v39
	v_xor_b32_e32 v38, s0, v38
	v_cmp_gt_i32_e64 s0, 0, v43
	v_and_b32_e32 v35, v35, v36
	v_not_b32_e32 v36, v44
	v_ashrrev_i32_e32 v42, 31, v42
	v_xor_b32_e32 v39, vcc_lo, v39
	v_cmp_gt_i32_e32 vcc_lo, 0, v44
	v_and_b32_e32 v35, v35, v38
	v_not_b32_e32 v38, v40
	v_ashrrev_i32_e32 v36, 31, v36
	v_xor_b32_e32 v42, s0, v42
	v_lshl_add_u32 v34, v34, 4, v34
	v_and_b32_e32 v35, v35, v39
	v_cmp_gt_i32_e64 s0, 0, v40
	v_ashrrev_i32_e32 v38, 31, v38
	v_xor_b32_e32 v39, vcc_lo, v36
	v_add_lshl_u32 v36, v3, v34, 2
	v_and_b32_e32 v35, v35, v42
	s_delay_alu instid0(VALU_DEP_4) | instskip(SKIP_2) | instid1(VALU_DEP_1)
	v_xor_b32_e32 v38, s0, v38
	ds_load_b32 v34, v36 offset:64
	v_and_b32_e32 v35, v35, v39
	; wave barrier
	v_and_b32_e32 v38, v35, v38
	s_delay_alu instid0(VALU_DEP_1) | instskip(SKIP_1) | instid1(VALU_DEP_2)
	v_mbcnt_lo_u32_b32 v35, v38, 0
	v_cmp_ne_u32_e64 s0, 0, v38
	v_cmp_eq_u32_e32 vcc_lo, 0, v35
	s_delay_alu instid0(VALU_DEP_2) | instskip(NEXT) | instid1(SALU_CYCLE_1)
	s_and_b32 s1, s0, vcc_lo
	s_and_saveexec_b32 s0, s1
	s_cbranch_execz .LBB25_237
; %bb.236:
	s_waitcnt lgkmcnt(0)
	v_bcnt_u32_b32 v38, v38, v34
	ds_store_b32 v36, v38 offset:64
.LBB25_237:
	s_or_b32 exec_lo, exec_lo, s0
	v_xor_b32_e32 v33, 0x80000000, v33
	; wave barrier
	s_delay_alu instid0(VALU_DEP_1) | instskip(NEXT) | instid1(VALU_DEP_1)
	v_lshrrev_b32_e32 v38, s64, v33
	v_and_b32_e32 v38, s6, v38
	s_delay_alu instid0(VALU_DEP_1)
	v_and_b32_e32 v39, 1, v38
	v_lshlrev_b32_e32 v40, 30, v38
	v_lshlrev_b32_e32 v42, 29, v38
	;; [unrolled: 1-line block ×4, first 2 shown]
	v_add_co_u32 v39, s0, v39, -1
	s_delay_alu instid0(VALU_DEP_1)
	v_cndmask_b32_e64 v44, 0, 1, s0
	v_not_b32_e32 v51, v40
	v_cmp_gt_i32_e64 s0, 0, v40
	v_not_b32_e32 v40, v42
	v_lshlrev_b32_e32 v47, 26, v38
	v_cmp_ne_u32_e32 vcc_lo, 0, v44
	v_ashrrev_i32_e32 v51, 31, v51
	v_lshlrev_b32_e32 v48, 25, v38
	v_ashrrev_i32_e32 v40, 31, v40
	v_lshlrev_b32_e32 v44, 24, v38
	v_xor_b32_e32 v39, vcc_lo, v39
	v_cmp_gt_i32_e32 vcc_lo, 0, v42
	v_not_b32_e32 v42, v43
	v_xor_b32_e32 v51, s0, v51
	v_cmp_gt_i32_e64 s0, 0, v43
	v_and_b32_e32 v39, exec_lo, v39
	v_not_b32_e32 v43, v46
	v_ashrrev_i32_e32 v42, 31, v42
	v_xor_b32_e32 v40, vcc_lo, v40
	v_cmp_gt_i32_e32 vcc_lo, 0, v46
	v_and_b32_e32 v39, v39, v51
	v_not_b32_e32 v46, v47
	v_ashrrev_i32_e32 v43, 31, v43
	v_xor_b32_e32 v42, s0, v42
	v_cmp_gt_i32_e64 s0, 0, v47
	v_and_b32_e32 v39, v39, v40
	v_not_b32_e32 v40, v48
	v_ashrrev_i32_e32 v46, 31, v46
	v_xor_b32_e32 v43, vcc_lo, v43
	v_cmp_gt_i32_e32 vcc_lo, 0, v48
	v_and_b32_e32 v39, v39, v42
	v_not_b32_e32 v42, v44
	v_ashrrev_i32_e32 v40, 31, v40
	v_xor_b32_e32 v46, s0, v46
	v_lshl_add_u32 v38, v38, 4, v38
	v_and_b32_e32 v39, v39, v43
	v_cmp_gt_i32_e64 s0, 0, v44
	v_ashrrev_i32_e32 v42, 31, v42
	v_xor_b32_e32 v43, vcc_lo, v40
	v_add_lshl_u32 v40, v3, v38, 2
	v_and_b32_e32 v39, v39, v46
	s_delay_alu instid0(VALU_DEP_4) | instskip(SKIP_2) | instid1(VALU_DEP_1)
	v_xor_b32_e32 v42, s0, v42
	ds_load_b32 v38, v40 offset:64
	v_and_b32_e32 v39, v39, v43
	; wave barrier
	v_and_b32_e32 v42, v39, v42
	s_delay_alu instid0(VALU_DEP_1) | instskip(SKIP_1) | instid1(VALU_DEP_2)
	v_mbcnt_lo_u32_b32 v39, v42, 0
	v_cmp_ne_u32_e64 s0, 0, v42
	v_cmp_eq_u32_e32 vcc_lo, 0, v39
	s_delay_alu instid0(VALU_DEP_2) | instskip(NEXT) | instid1(SALU_CYCLE_1)
	s_and_b32 s1, s0, vcc_lo
	s_and_saveexec_b32 s0, s1
	s_cbranch_execz .LBB25_239
; %bb.238:
	s_waitcnt lgkmcnt(0)
	v_bcnt_u32_b32 v42, v42, v38
	ds_store_b32 v40, v42 offset:64
.LBB25_239:
	s_or_b32 exec_lo, exec_lo, s0
	v_xor_b32_e32 v37, 0x80000000, v37
	; wave barrier
	s_delay_alu instid0(VALU_DEP_1) | instskip(NEXT) | instid1(VALU_DEP_1)
	v_lshrrev_b32_e32 v42, s64, v37
	v_and_b32_e32 v42, s6, v42
	s_delay_alu instid0(VALU_DEP_1)
	v_and_b32_e32 v43, 1, v42
	v_lshlrev_b32_e32 v44, 30, v42
	v_lshlrev_b32_e32 v46, 29, v42
	;; [unrolled: 1-line block ×4, first 2 shown]
	v_add_co_u32 v43, s0, v43, -1
	s_delay_alu instid0(VALU_DEP_1)
	v_cndmask_b32_e64 v48, 0, 1, s0
	v_not_b32_e32 v56, v44
	v_cmp_gt_i32_e64 s0, 0, v44
	v_not_b32_e32 v44, v46
	v_lshlrev_b32_e32 v52, 26, v42
	v_cmp_ne_u32_e32 vcc_lo, 0, v48
	v_ashrrev_i32_e32 v56, 31, v56
	v_lshlrev_b32_e32 v53, 25, v42
	v_ashrrev_i32_e32 v44, 31, v44
	v_lshlrev_b32_e32 v48, 24, v42
	v_xor_b32_e32 v43, vcc_lo, v43
	v_cmp_gt_i32_e32 vcc_lo, 0, v46
	v_not_b32_e32 v46, v47
	v_xor_b32_e32 v56, s0, v56
	v_cmp_gt_i32_e64 s0, 0, v47
	v_and_b32_e32 v43, exec_lo, v43
	v_not_b32_e32 v47, v51
	v_ashrrev_i32_e32 v46, 31, v46
	v_xor_b32_e32 v44, vcc_lo, v44
	v_cmp_gt_i32_e32 vcc_lo, 0, v51
	v_and_b32_e32 v43, v43, v56
	v_not_b32_e32 v51, v52
	v_ashrrev_i32_e32 v47, 31, v47
	v_xor_b32_e32 v46, s0, v46
	v_cmp_gt_i32_e64 s0, 0, v52
	v_and_b32_e32 v43, v43, v44
	v_not_b32_e32 v44, v53
	v_ashrrev_i32_e32 v51, 31, v51
	v_xor_b32_e32 v47, vcc_lo, v47
	v_cmp_gt_i32_e32 vcc_lo, 0, v53
	v_and_b32_e32 v43, v43, v46
	v_not_b32_e32 v46, v48
	v_ashrrev_i32_e32 v44, 31, v44
	v_xor_b32_e32 v51, s0, v51
	v_lshl_add_u32 v42, v42, 4, v42
	v_and_b32_e32 v43, v43, v47
	v_cmp_gt_i32_e64 s0, 0, v48
	v_ashrrev_i32_e32 v46, 31, v46
	v_xor_b32_e32 v47, vcc_lo, v44
	v_add_lshl_u32 v44, v3, v42, 2
	v_and_b32_e32 v43, v43, v51
	s_delay_alu instid0(VALU_DEP_4) | instskip(SKIP_2) | instid1(VALU_DEP_1)
	v_xor_b32_e32 v46, s0, v46
	ds_load_b32 v42, v44 offset:64
	v_and_b32_e32 v43, v43, v47
	; wave barrier
	v_and_b32_e32 v46, v43, v46
	s_delay_alu instid0(VALU_DEP_1) | instskip(SKIP_1) | instid1(VALU_DEP_2)
	v_mbcnt_lo_u32_b32 v43, v46, 0
	v_cmp_ne_u32_e64 s0, 0, v46
	v_cmp_eq_u32_e32 vcc_lo, 0, v43
	s_delay_alu instid0(VALU_DEP_2) | instskip(NEXT) | instid1(SALU_CYCLE_1)
	s_and_b32 s1, s0, vcc_lo
	s_and_saveexec_b32 s0, s1
	s_cbranch_execz .LBB25_241
; %bb.240:
	s_waitcnt lgkmcnt(0)
	v_bcnt_u32_b32 v46, v46, v42
	ds_store_b32 v44, v46 offset:64
.LBB25_241:
	s_or_b32 exec_lo, exec_lo, s0
	v_xor_b32_e32 v41, 0x80000000, v41
	; wave barrier
	s_delay_alu instid0(VALU_DEP_1) | instskip(NEXT) | instid1(VALU_DEP_1)
	v_lshrrev_b32_e32 v46, s64, v41
	v_and_b32_e32 v46, s6, v46
	s_delay_alu instid0(VALU_DEP_1)
	v_and_b32_e32 v47, 1, v46
	v_lshlrev_b32_e32 v48, 30, v46
	v_lshlrev_b32_e32 v51, 29, v46
	;; [unrolled: 1-line block ×4, first 2 shown]
	v_add_co_u32 v47, s0, v47, -1
	s_delay_alu instid0(VALU_DEP_1)
	v_cndmask_b32_e64 v53, 0, 1, s0
	v_not_b32_e32 v60, v48
	v_cmp_gt_i32_e64 s0, 0, v48
	v_not_b32_e32 v48, v51
	v_lshlrev_b32_e32 v57, 26, v46
	v_cmp_ne_u32_e32 vcc_lo, 0, v53
	v_ashrrev_i32_e32 v60, 31, v60
	v_lshlrev_b32_e32 v58, 25, v46
	v_ashrrev_i32_e32 v48, 31, v48
	v_lshlrev_b32_e32 v53, 24, v46
	v_xor_b32_e32 v47, vcc_lo, v47
	v_cmp_gt_i32_e32 vcc_lo, 0, v51
	v_not_b32_e32 v51, v52
	v_xor_b32_e32 v60, s0, v60
	v_cmp_gt_i32_e64 s0, 0, v52
	v_and_b32_e32 v47, exec_lo, v47
	v_not_b32_e32 v52, v56
	v_ashrrev_i32_e32 v51, 31, v51
	v_xor_b32_e32 v48, vcc_lo, v48
	v_cmp_gt_i32_e32 vcc_lo, 0, v56
	v_and_b32_e32 v47, v47, v60
	v_not_b32_e32 v56, v57
	v_ashrrev_i32_e32 v52, 31, v52
	v_xor_b32_e32 v51, s0, v51
	v_cmp_gt_i32_e64 s0, 0, v57
	v_and_b32_e32 v47, v47, v48
	v_not_b32_e32 v48, v58
	v_ashrrev_i32_e32 v56, 31, v56
	v_xor_b32_e32 v52, vcc_lo, v52
	v_cmp_gt_i32_e32 vcc_lo, 0, v58
	v_and_b32_e32 v47, v47, v51
	v_not_b32_e32 v51, v53
	v_ashrrev_i32_e32 v48, 31, v48
	v_xor_b32_e32 v56, s0, v56
	v_lshl_add_u32 v46, v46, 4, v46
	v_and_b32_e32 v47, v47, v52
	v_cmp_gt_i32_e64 s0, 0, v53
	v_ashrrev_i32_e32 v51, 31, v51
	v_xor_b32_e32 v52, vcc_lo, v48
	v_add_lshl_u32 v48, v3, v46, 2
	v_and_b32_e32 v47, v47, v56
	s_delay_alu instid0(VALU_DEP_4) | instskip(SKIP_2) | instid1(VALU_DEP_1)
	v_xor_b32_e32 v51, s0, v51
	ds_load_b32 v46, v48 offset:64
	v_and_b32_e32 v47, v47, v52
	; wave barrier
	v_and_b32_e32 v51, v47, v51
	s_delay_alu instid0(VALU_DEP_1) | instskip(SKIP_1) | instid1(VALU_DEP_2)
	v_mbcnt_lo_u32_b32 v47, v51, 0
	v_cmp_ne_u32_e64 s0, 0, v51
	v_cmp_eq_u32_e32 vcc_lo, 0, v47
	s_delay_alu instid0(VALU_DEP_2) | instskip(NEXT) | instid1(SALU_CYCLE_1)
	s_and_b32 s1, s0, vcc_lo
	s_and_saveexec_b32 s0, s1
	s_cbranch_execz .LBB25_243
; %bb.242:
	s_waitcnt lgkmcnt(0)
	v_bcnt_u32_b32 v51, v51, v46
	ds_store_b32 v48, v51 offset:64
.LBB25_243:
	s_or_b32 exec_lo, exec_lo, s0
	v_xor_b32_e32 v45, 0x80000000, v45
	; wave barrier
	s_delay_alu instid0(VALU_DEP_1) | instskip(NEXT) | instid1(VALU_DEP_1)
	v_lshrrev_b32_e32 v51, s64, v45
	v_and_b32_e32 v51, s6, v51
	s_delay_alu instid0(VALU_DEP_1)
	v_and_b32_e32 v52, 1, v51
	v_lshlrev_b32_e32 v53, 30, v51
	v_lshlrev_b32_e32 v56, 29, v51
	;; [unrolled: 1-line block ×4, first 2 shown]
	v_add_co_u32 v52, s0, v52, -1
	s_delay_alu instid0(VALU_DEP_1)
	v_cndmask_b32_e64 v58, 0, 1, s0
	v_not_b32_e32 v63, v53
	v_cmp_gt_i32_e64 s0, 0, v53
	v_not_b32_e32 v53, v56
	v_lshlrev_b32_e32 v61, 26, v51
	v_cmp_ne_u32_e32 vcc_lo, 0, v58
	v_ashrrev_i32_e32 v63, 31, v63
	v_lshlrev_b32_e32 v62, 25, v51
	v_ashrrev_i32_e32 v53, 31, v53
	v_lshlrev_b32_e32 v58, 24, v51
	v_xor_b32_e32 v52, vcc_lo, v52
	v_cmp_gt_i32_e32 vcc_lo, 0, v56
	v_not_b32_e32 v56, v57
	v_xor_b32_e32 v63, s0, v63
	v_cmp_gt_i32_e64 s0, 0, v57
	v_and_b32_e32 v52, exec_lo, v52
	v_not_b32_e32 v57, v60
	v_ashrrev_i32_e32 v56, 31, v56
	v_xor_b32_e32 v53, vcc_lo, v53
	v_cmp_gt_i32_e32 vcc_lo, 0, v60
	v_and_b32_e32 v52, v52, v63
	v_not_b32_e32 v60, v61
	v_ashrrev_i32_e32 v57, 31, v57
	v_xor_b32_e32 v56, s0, v56
	v_cmp_gt_i32_e64 s0, 0, v61
	v_and_b32_e32 v52, v52, v53
	v_not_b32_e32 v53, v62
	v_ashrrev_i32_e32 v60, 31, v60
	v_xor_b32_e32 v57, vcc_lo, v57
	v_cmp_gt_i32_e32 vcc_lo, 0, v62
	v_and_b32_e32 v52, v52, v56
	v_not_b32_e32 v56, v58
	v_ashrrev_i32_e32 v53, 31, v53
	v_xor_b32_e32 v60, s0, v60
	v_lshl_add_u32 v51, v51, 4, v51
	v_and_b32_e32 v52, v52, v57
	v_cmp_gt_i32_e64 s0, 0, v58
	v_ashrrev_i32_e32 v56, 31, v56
	v_xor_b32_e32 v57, vcc_lo, v53
	v_add_lshl_u32 v53, v3, v51, 2
	v_and_b32_e32 v52, v52, v60
	s_delay_alu instid0(VALU_DEP_4) | instskip(SKIP_2) | instid1(VALU_DEP_1)
	v_xor_b32_e32 v56, s0, v56
	ds_load_b32 v51, v53 offset:64
	v_and_b32_e32 v52, v52, v57
	; wave barrier
	v_and_b32_e32 v56, v52, v56
	s_delay_alu instid0(VALU_DEP_1) | instskip(SKIP_1) | instid1(VALU_DEP_2)
	v_mbcnt_lo_u32_b32 v52, v56, 0
	v_cmp_ne_u32_e64 s0, 0, v56
	v_cmp_eq_u32_e32 vcc_lo, 0, v52
	s_delay_alu instid0(VALU_DEP_2) | instskip(NEXT) | instid1(SALU_CYCLE_1)
	s_and_b32 s1, s0, vcc_lo
	s_and_saveexec_b32 s0, s1
	s_cbranch_execz .LBB25_245
; %bb.244:
	s_waitcnt lgkmcnt(0)
	v_bcnt_u32_b32 v56, v56, v51
	ds_store_b32 v53, v56 offset:64
.LBB25_245:
	s_or_b32 exec_lo, exec_lo, s0
	v_xor_b32_e32 v50, 0x80000000, v50
	; wave barrier
	s_delay_alu instid0(VALU_DEP_1) | instskip(NEXT) | instid1(VALU_DEP_1)
	v_lshrrev_b32_e32 v56, s64, v50
	v_and_b32_e32 v56, s6, v56
	s_delay_alu instid0(VALU_DEP_1)
	v_and_b32_e32 v57, 1, v56
	v_lshlrev_b32_e32 v58, 30, v56
	v_lshlrev_b32_e32 v60, 29, v56
	;; [unrolled: 1-line block ×4, first 2 shown]
	v_add_co_u32 v57, s0, v57, -1
	s_delay_alu instid0(VALU_DEP_1)
	v_cndmask_b32_e64 v62, 0, 1, s0
	v_not_b32_e32 v66, v58
	v_cmp_gt_i32_e64 s0, 0, v58
	v_not_b32_e32 v58, v60
	v_lshlrev_b32_e32 v64, 26, v56
	v_cmp_ne_u32_e32 vcc_lo, 0, v62
	v_ashrrev_i32_e32 v66, 31, v66
	v_lshlrev_b32_e32 v65, 25, v56
	v_ashrrev_i32_e32 v58, 31, v58
	v_lshlrev_b32_e32 v62, 24, v56
	v_xor_b32_e32 v57, vcc_lo, v57
	v_cmp_gt_i32_e32 vcc_lo, 0, v60
	v_not_b32_e32 v60, v61
	v_xor_b32_e32 v66, s0, v66
	v_cmp_gt_i32_e64 s0, 0, v61
	v_and_b32_e32 v57, exec_lo, v57
	v_not_b32_e32 v61, v63
	v_ashrrev_i32_e32 v60, 31, v60
	v_xor_b32_e32 v58, vcc_lo, v58
	v_cmp_gt_i32_e32 vcc_lo, 0, v63
	v_and_b32_e32 v57, v57, v66
	v_not_b32_e32 v63, v64
	v_ashrrev_i32_e32 v61, 31, v61
	v_xor_b32_e32 v60, s0, v60
	v_cmp_gt_i32_e64 s0, 0, v64
	v_and_b32_e32 v57, v57, v58
	v_not_b32_e32 v58, v65
	v_ashrrev_i32_e32 v63, 31, v63
	v_xor_b32_e32 v61, vcc_lo, v61
	v_cmp_gt_i32_e32 vcc_lo, 0, v65
	v_and_b32_e32 v57, v57, v60
	v_not_b32_e32 v60, v62
	v_ashrrev_i32_e32 v58, 31, v58
	v_xor_b32_e32 v63, s0, v63
	v_lshl_add_u32 v56, v56, 4, v56
	v_and_b32_e32 v57, v57, v61
	v_cmp_gt_i32_e64 s0, 0, v62
	v_ashrrev_i32_e32 v60, 31, v60
	v_xor_b32_e32 v61, vcc_lo, v58
	v_add_lshl_u32 v58, v3, v56, 2
	v_and_b32_e32 v57, v57, v63
	s_delay_alu instid0(VALU_DEP_4) | instskip(SKIP_2) | instid1(VALU_DEP_1)
	v_xor_b32_e32 v60, s0, v60
	ds_load_b32 v56, v58 offset:64
	v_and_b32_e32 v57, v57, v61
	; wave barrier
	v_and_b32_e32 v60, v57, v60
	s_delay_alu instid0(VALU_DEP_1) | instskip(SKIP_1) | instid1(VALU_DEP_2)
	v_mbcnt_lo_u32_b32 v57, v60, 0
	v_cmp_ne_u32_e64 s0, 0, v60
	v_cmp_eq_u32_e32 vcc_lo, 0, v57
	s_delay_alu instid0(VALU_DEP_2) | instskip(NEXT) | instid1(SALU_CYCLE_1)
	s_and_b32 s1, s0, vcc_lo
	s_and_saveexec_b32 s0, s1
	s_cbranch_execz .LBB25_247
; %bb.246:
	s_waitcnt lgkmcnt(0)
	v_bcnt_u32_b32 v60, v60, v56
	ds_store_b32 v58, v60 offset:64
.LBB25_247:
	s_or_b32 exec_lo, exec_lo, s0
	v_xor_b32_e32 v55, 0x80000000, v55
	; wave barrier
	s_delay_alu instid0(VALU_DEP_1) | instskip(NEXT) | instid1(VALU_DEP_1)
	v_lshrrev_b32_e32 v60, s64, v55
	v_and_b32_e32 v60, s6, v60
	s_delay_alu instid0(VALU_DEP_1)
	v_and_b32_e32 v61, 1, v60
	v_lshlrev_b32_e32 v62, 30, v60
	v_lshlrev_b32_e32 v63, 29, v60
	;; [unrolled: 1-line block ×4, first 2 shown]
	v_add_co_u32 v61, s0, v61, -1
	s_delay_alu instid0(VALU_DEP_1)
	v_cndmask_b32_e64 v65, 0, 1, s0
	v_not_b32_e32 v69, v62
	v_cmp_gt_i32_e64 s0, 0, v62
	v_not_b32_e32 v62, v63
	v_lshlrev_b32_e32 v67, 26, v60
	v_cmp_ne_u32_e32 vcc_lo, 0, v65
	v_ashrrev_i32_e32 v69, 31, v69
	v_lshlrev_b32_e32 v68, 25, v60
	v_ashrrev_i32_e32 v62, 31, v62
	v_lshlrev_b32_e32 v65, 24, v60
	v_xor_b32_e32 v61, vcc_lo, v61
	v_cmp_gt_i32_e32 vcc_lo, 0, v63
	v_not_b32_e32 v63, v64
	v_xor_b32_e32 v69, s0, v69
	v_cmp_gt_i32_e64 s0, 0, v64
	v_and_b32_e32 v61, exec_lo, v61
	v_not_b32_e32 v64, v66
	v_ashrrev_i32_e32 v63, 31, v63
	v_xor_b32_e32 v62, vcc_lo, v62
	v_cmp_gt_i32_e32 vcc_lo, 0, v66
	v_and_b32_e32 v61, v61, v69
	v_not_b32_e32 v66, v67
	v_ashrrev_i32_e32 v64, 31, v64
	v_xor_b32_e32 v63, s0, v63
	v_cmp_gt_i32_e64 s0, 0, v67
	v_and_b32_e32 v61, v61, v62
	v_not_b32_e32 v62, v68
	v_ashrrev_i32_e32 v66, 31, v66
	v_xor_b32_e32 v64, vcc_lo, v64
	v_cmp_gt_i32_e32 vcc_lo, 0, v68
	v_and_b32_e32 v61, v61, v63
	v_not_b32_e32 v63, v65
	v_ashrrev_i32_e32 v62, 31, v62
	v_xor_b32_e32 v66, s0, v66
	v_lshl_add_u32 v60, v60, 4, v60
	v_and_b32_e32 v61, v61, v64
	v_cmp_gt_i32_e64 s0, 0, v65
	v_ashrrev_i32_e32 v63, 31, v63
	v_xor_b32_e32 v64, vcc_lo, v62
	v_add_lshl_u32 v62, v3, v60, 2
	v_and_b32_e32 v61, v61, v66
	s_delay_alu instid0(VALU_DEP_4) | instskip(SKIP_2) | instid1(VALU_DEP_1)
	v_xor_b32_e32 v63, s0, v63
	ds_load_b32 v60, v62 offset:64
	v_and_b32_e32 v61, v61, v64
	; wave barrier
	v_and_b32_e32 v63, v61, v63
	s_delay_alu instid0(VALU_DEP_1) | instskip(SKIP_1) | instid1(VALU_DEP_2)
	v_mbcnt_lo_u32_b32 v61, v63, 0
	v_cmp_ne_u32_e64 s0, 0, v63
	v_cmp_eq_u32_e32 vcc_lo, 0, v61
	s_delay_alu instid0(VALU_DEP_2) | instskip(NEXT) | instid1(SALU_CYCLE_1)
	s_and_b32 s1, s0, vcc_lo
	s_and_saveexec_b32 s0, s1
	s_cbranch_execz .LBB25_249
; %bb.248:
	s_waitcnt lgkmcnt(0)
	v_bcnt_u32_b32 v63, v63, v60
	ds_store_b32 v62, v63 offset:64
.LBB25_249:
	s_or_b32 exec_lo, exec_lo, s0
	v_xor_b32_e32 v59, 0x80000000, v59
	; wave barrier
	s_delay_alu instid0(VALU_DEP_1) | instskip(NEXT) | instid1(VALU_DEP_1)
	v_lshrrev_b32_e32 v63, s64, v59
	v_and_b32_e32 v63, s6, v63
	s_delay_alu instid0(VALU_DEP_1)
	v_and_b32_e32 v64, 1, v63
	v_lshlrev_b32_e32 v65, 30, v63
	v_lshlrev_b32_e32 v66, 29, v63
	;; [unrolled: 1-line block ×4, first 2 shown]
	v_add_co_u32 v64, s0, v64, -1
	s_delay_alu instid0(VALU_DEP_1)
	v_cndmask_b32_e64 v68, 0, 1, s0
	v_not_b32_e32 v72, v65
	v_cmp_gt_i32_e64 s0, 0, v65
	v_not_b32_e32 v65, v66
	v_lshlrev_b32_e32 v70, 26, v63
	v_cmp_ne_u32_e32 vcc_lo, 0, v68
	v_ashrrev_i32_e32 v72, 31, v72
	v_lshlrev_b32_e32 v71, 25, v63
	v_ashrrev_i32_e32 v65, 31, v65
	v_lshlrev_b32_e32 v68, 24, v63
	v_xor_b32_e32 v64, vcc_lo, v64
	v_cmp_gt_i32_e32 vcc_lo, 0, v66
	v_not_b32_e32 v66, v67
	v_xor_b32_e32 v72, s0, v72
	v_cmp_gt_i32_e64 s0, 0, v67
	v_and_b32_e32 v64, exec_lo, v64
	v_not_b32_e32 v67, v69
	v_ashrrev_i32_e32 v66, 31, v66
	v_xor_b32_e32 v65, vcc_lo, v65
	v_cmp_gt_i32_e32 vcc_lo, 0, v69
	v_and_b32_e32 v64, v64, v72
	v_not_b32_e32 v69, v70
	v_ashrrev_i32_e32 v67, 31, v67
	v_xor_b32_e32 v66, s0, v66
	v_cmp_gt_i32_e64 s0, 0, v70
	v_and_b32_e32 v64, v64, v65
	v_not_b32_e32 v65, v71
	v_ashrrev_i32_e32 v69, 31, v69
	v_xor_b32_e32 v67, vcc_lo, v67
	v_cmp_gt_i32_e32 vcc_lo, 0, v71
	v_and_b32_e32 v64, v64, v66
	v_not_b32_e32 v66, v68
	v_ashrrev_i32_e32 v65, 31, v65
	v_xor_b32_e32 v69, s0, v69
	v_lshl_add_u32 v63, v63, 4, v63
	v_and_b32_e32 v64, v64, v67
	v_cmp_gt_i32_e64 s0, 0, v68
	v_ashrrev_i32_e32 v66, 31, v66
	v_xor_b32_e32 v67, vcc_lo, v65
	v_add_lshl_u32 v65, v3, v63, 2
	v_and_b32_e32 v64, v64, v69
	s_delay_alu instid0(VALU_DEP_4) | instskip(SKIP_2) | instid1(VALU_DEP_1)
	v_xor_b32_e32 v66, s0, v66
	ds_load_b32 v63, v65 offset:64
	v_and_b32_e32 v64, v64, v67
	; wave barrier
	v_and_b32_e32 v66, v64, v66
	s_delay_alu instid0(VALU_DEP_1) | instskip(SKIP_1) | instid1(VALU_DEP_2)
	v_mbcnt_lo_u32_b32 v64, v66, 0
	v_cmp_ne_u32_e64 s0, 0, v66
	v_cmp_eq_u32_e32 vcc_lo, 0, v64
	s_delay_alu instid0(VALU_DEP_2) | instskip(NEXT) | instid1(SALU_CYCLE_1)
	s_and_b32 s1, s0, vcc_lo
	s_and_saveexec_b32 s0, s1
	s_cbranch_execz .LBB25_251
; %bb.250:
	s_waitcnt lgkmcnt(0)
	v_bcnt_u32_b32 v66, v66, v63
	ds_store_b32 v65, v66 offset:64
.LBB25_251:
	s_or_b32 exec_lo, exec_lo, s0
	v_xor_b32_e32 v54, 0x80000000, v54
	; wave barrier
	s_delay_alu instid0(VALU_DEP_1) | instskip(NEXT) | instid1(VALU_DEP_1)
	v_lshrrev_b32_e32 v66, s64, v54
	v_and_b32_e32 v66, s6, v66
	s_delay_alu instid0(VALU_DEP_1)
	v_and_b32_e32 v67, 1, v66
	v_lshlrev_b32_e32 v68, 30, v66
	v_lshlrev_b32_e32 v69, 29, v66
	;; [unrolled: 1-line block ×4, first 2 shown]
	v_add_co_u32 v67, s0, v67, -1
	s_delay_alu instid0(VALU_DEP_1)
	v_cndmask_b32_e64 v71, 0, 1, s0
	v_not_b32_e32 v75, v68
	v_cmp_gt_i32_e64 s0, 0, v68
	v_not_b32_e32 v68, v69
	v_lshlrev_b32_e32 v73, 26, v66
	v_cmp_ne_u32_e32 vcc_lo, 0, v71
	v_ashrrev_i32_e32 v75, 31, v75
	v_lshlrev_b32_e32 v74, 25, v66
	v_ashrrev_i32_e32 v68, 31, v68
	v_lshlrev_b32_e32 v71, 24, v66
	v_xor_b32_e32 v67, vcc_lo, v67
	v_cmp_gt_i32_e32 vcc_lo, 0, v69
	v_not_b32_e32 v69, v70
	v_xor_b32_e32 v75, s0, v75
	v_cmp_gt_i32_e64 s0, 0, v70
	v_and_b32_e32 v67, exec_lo, v67
	v_not_b32_e32 v70, v72
	v_ashrrev_i32_e32 v69, 31, v69
	v_xor_b32_e32 v68, vcc_lo, v68
	v_cmp_gt_i32_e32 vcc_lo, 0, v72
	v_and_b32_e32 v67, v67, v75
	v_not_b32_e32 v72, v73
	v_ashrrev_i32_e32 v70, 31, v70
	v_xor_b32_e32 v69, s0, v69
	v_cmp_gt_i32_e64 s0, 0, v73
	v_and_b32_e32 v67, v67, v68
	v_not_b32_e32 v68, v74
	v_ashrrev_i32_e32 v72, 31, v72
	v_xor_b32_e32 v70, vcc_lo, v70
	v_cmp_gt_i32_e32 vcc_lo, 0, v74
	v_and_b32_e32 v67, v67, v69
	v_not_b32_e32 v69, v71
	v_ashrrev_i32_e32 v68, 31, v68
	v_xor_b32_e32 v72, s0, v72
	v_lshl_add_u32 v66, v66, 4, v66
	v_and_b32_e32 v67, v67, v70
	v_cmp_gt_i32_e64 s0, 0, v71
	v_ashrrev_i32_e32 v69, 31, v69
	v_xor_b32_e32 v70, vcc_lo, v68
	v_add_lshl_u32 v68, v3, v66, 2
	v_and_b32_e32 v67, v67, v72
	s_delay_alu instid0(VALU_DEP_4) | instskip(SKIP_2) | instid1(VALU_DEP_1)
	v_xor_b32_e32 v69, s0, v69
	ds_load_b32 v66, v68 offset:64
	v_and_b32_e32 v67, v67, v70
	; wave barrier
	v_and_b32_e32 v69, v67, v69
	s_delay_alu instid0(VALU_DEP_1) | instskip(SKIP_1) | instid1(VALU_DEP_2)
	v_mbcnt_lo_u32_b32 v67, v69, 0
	v_cmp_ne_u32_e64 s0, 0, v69
	v_cmp_eq_u32_e32 vcc_lo, 0, v67
	s_delay_alu instid0(VALU_DEP_2) | instskip(NEXT) | instid1(SALU_CYCLE_1)
	s_and_b32 s1, s0, vcc_lo
	s_and_saveexec_b32 s0, s1
	s_cbranch_execz .LBB25_253
; %bb.252:
	s_waitcnt lgkmcnt(0)
	v_bcnt_u32_b32 v69, v69, v66
	ds_store_b32 v68, v69 offset:64
.LBB25_253:
	s_or_b32 exec_lo, exec_lo, s0
	v_xor_b32_e32 v49, 0x80000000, v49
	; wave barrier
	s_delay_alu instid0(VALU_DEP_1) | instskip(NEXT) | instid1(VALU_DEP_1)
	v_lshrrev_b32_e32 v69, s64, v49
	v_and_b32_e32 v69, s6, v69
	s_delay_alu instid0(VALU_DEP_1)
	v_and_b32_e32 v70, 1, v69
	v_lshlrev_b32_e32 v71, 30, v69
	v_lshlrev_b32_e32 v72, 29, v69
	;; [unrolled: 1-line block ×4, first 2 shown]
	v_add_co_u32 v70, s0, v70, -1
	s_delay_alu instid0(VALU_DEP_1)
	v_cndmask_b32_e64 v74, 0, 1, s0
	v_not_b32_e32 v78, v71
	v_cmp_gt_i32_e64 s0, 0, v71
	v_not_b32_e32 v71, v72
	v_lshlrev_b32_e32 v76, 26, v69
	v_cmp_ne_u32_e32 vcc_lo, 0, v74
	v_ashrrev_i32_e32 v78, 31, v78
	v_lshlrev_b32_e32 v77, 25, v69
	v_ashrrev_i32_e32 v71, 31, v71
	v_lshlrev_b32_e32 v74, 24, v69
	v_xor_b32_e32 v70, vcc_lo, v70
	v_cmp_gt_i32_e32 vcc_lo, 0, v72
	v_not_b32_e32 v72, v73
	v_xor_b32_e32 v78, s0, v78
	v_cmp_gt_i32_e64 s0, 0, v73
	v_and_b32_e32 v70, exec_lo, v70
	v_not_b32_e32 v73, v75
	v_ashrrev_i32_e32 v72, 31, v72
	v_xor_b32_e32 v71, vcc_lo, v71
	v_cmp_gt_i32_e32 vcc_lo, 0, v75
	v_and_b32_e32 v70, v70, v78
	v_not_b32_e32 v75, v76
	v_ashrrev_i32_e32 v73, 31, v73
	v_xor_b32_e32 v72, s0, v72
	v_cmp_gt_i32_e64 s0, 0, v76
	v_and_b32_e32 v70, v70, v71
	v_not_b32_e32 v71, v77
	v_ashrrev_i32_e32 v75, 31, v75
	v_xor_b32_e32 v73, vcc_lo, v73
	v_cmp_gt_i32_e32 vcc_lo, 0, v77
	v_and_b32_e32 v70, v70, v72
	v_not_b32_e32 v72, v74
	v_ashrrev_i32_e32 v71, 31, v71
	v_xor_b32_e32 v75, s0, v75
	v_lshl_add_u32 v69, v69, 4, v69
	v_and_b32_e32 v70, v70, v73
	v_cmp_gt_i32_e64 s0, 0, v74
	v_ashrrev_i32_e32 v73, 31, v72
	v_xor_b32_e32 v71, vcc_lo, v71
	v_add_lshl_u32 v72, v3, v69, 2
	v_and_b32_e32 v70, v70, v75
	s_delay_alu instid0(VALU_DEP_4) | instskip(NEXT) | instid1(VALU_DEP_2)
	v_xor_b32_e32 v69, s0, v73
	v_and_b32_e32 v71, v70, v71
	ds_load_b32 v70, v72 offset:64
	; wave barrier
	v_and_b32_e32 v69, v71, v69
	s_delay_alu instid0(VALU_DEP_1) | instskip(SKIP_1) | instid1(VALU_DEP_2)
	v_mbcnt_lo_u32_b32 v71, v69, 0
	v_cmp_ne_u32_e64 s0, 0, v69
	v_cmp_eq_u32_e32 vcc_lo, 0, v71
	s_delay_alu instid0(VALU_DEP_2) | instskip(NEXT) | instid1(SALU_CYCLE_1)
	s_and_b32 s1, s0, vcc_lo
	s_and_saveexec_b32 s0, s1
	s_cbranch_execz .LBB25_255
; %bb.254:
	s_waitcnt lgkmcnt(0)
	v_bcnt_u32_b32 v69, v69, v70
	ds_store_b32 v72, v69 offset:64
.LBB25_255:
	s_or_b32 exec_lo, exec_lo, s0
	v_xor_b32_e32 v69, 0x80000000, v9
	; wave barrier
	s_delay_alu instid0(VALU_DEP_1) | instskip(NEXT) | instid1(VALU_DEP_1)
	v_lshrrev_b32_e32 v9, s64, v69
	v_and_b32_e32 v9, s6, v9
	s_delay_alu instid0(VALU_DEP_1)
	v_and_b32_e32 v73, 1, v9
	v_lshlrev_b32_e32 v74, 30, v9
	v_lshlrev_b32_e32 v75, 29, v9
	v_lshlrev_b32_e32 v76, 28, v9
	v_lshlrev_b32_e32 v78, 27, v9
	v_add_co_u32 v73, s0, v73, -1
	s_delay_alu instid0(VALU_DEP_1)
	v_cndmask_b32_e64 v77, 0, 1, s0
	v_not_b32_e32 v81, v74
	v_cmp_gt_i32_e64 s0, 0, v74
	v_not_b32_e32 v74, v75
	v_lshlrev_b32_e32 v79, 26, v9
	v_cmp_ne_u32_e32 vcc_lo, 0, v77
	v_ashrrev_i32_e32 v81, 31, v81
	v_lshlrev_b32_e32 v80, 25, v9
	v_ashrrev_i32_e32 v74, 31, v74
	v_lshlrev_b32_e32 v77, 24, v9
	v_xor_b32_e32 v73, vcc_lo, v73
	v_cmp_gt_i32_e32 vcc_lo, 0, v75
	v_not_b32_e32 v75, v76
	v_xor_b32_e32 v81, s0, v81
	v_cmp_gt_i32_e64 s0, 0, v76
	v_and_b32_e32 v73, exec_lo, v73
	v_not_b32_e32 v76, v78
	v_ashrrev_i32_e32 v75, 31, v75
	v_xor_b32_e32 v74, vcc_lo, v74
	v_cmp_gt_i32_e32 vcc_lo, 0, v78
	v_and_b32_e32 v73, v73, v81
	v_not_b32_e32 v78, v79
	v_ashrrev_i32_e32 v76, 31, v76
	v_xor_b32_e32 v75, s0, v75
	v_cmp_gt_i32_e64 s0, 0, v79
	v_and_b32_e32 v73, v73, v74
	v_not_b32_e32 v74, v80
	v_ashrrev_i32_e32 v78, 31, v78
	v_xor_b32_e32 v76, vcc_lo, v76
	v_cmp_gt_i32_e32 vcc_lo, 0, v80
	v_and_b32_e32 v73, v73, v75
	v_not_b32_e32 v75, v77
	v_ashrrev_i32_e32 v74, 31, v74
	v_xor_b32_e32 v78, s0, v78
	v_lshl_add_u32 v9, v9, 4, v9
	v_and_b32_e32 v73, v73, v76
	v_cmp_gt_i32_e64 s0, 0, v77
	v_ashrrev_i32_e32 v75, 31, v75
	v_xor_b32_e32 v74, vcc_lo, v74
	v_add_lshl_u32 v77, v3, v9, 2
	v_and_b32_e32 v73, v73, v78
	s_delay_alu instid0(VALU_DEP_4) | instskip(NEXT) | instid1(VALU_DEP_2)
	v_xor_b32_e32 v9, s0, v75
	v_and_b32_e32 v73, v73, v74
	ds_load_b32 v74, v77 offset:64
	; wave barrier
	v_and_b32_e32 v9, v73, v9
	s_delay_alu instid0(VALU_DEP_1) | instskip(SKIP_1) | instid1(VALU_DEP_2)
	v_mbcnt_lo_u32_b32 v75, v9, 0
	v_cmp_ne_u32_e64 s0, 0, v9
	v_cmp_eq_u32_e32 vcc_lo, 0, v75
	s_delay_alu instid0(VALU_DEP_2) | instskip(NEXT) | instid1(SALU_CYCLE_1)
	s_and_b32 s1, s0, vcc_lo
	s_and_saveexec_b32 s0, s1
	s_cbranch_execz .LBB25_257
; %bb.256:
	s_waitcnt lgkmcnt(0)
	v_bcnt_u32_b32 v9, v9, v74
	ds_store_b32 v77, v9 offset:64
.LBB25_257:
	s_or_b32 exec_lo, exec_lo, s0
	v_xor_b32_e32 v73, 0x80000000, v8
	; wave barrier
	s_delay_alu instid0(VALU_DEP_1) | instskip(NEXT) | instid1(VALU_DEP_1)
	v_lshrrev_b32_e32 v8, s64, v73
	v_and_b32_e32 v8, s6, v8
	s_delay_alu instid0(VALU_DEP_1)
	v_and_b32_e32 v9, 1, v8
	v_lshlrev_b32_e32 v76, 30, v8
	v_lshlrev_b32_e32 v78, 29, v8
	;; [unrolled: 1-line block ×4, first 2 shown]
	v_add_co_u32 v9, s0, v9, -1
	s_delay_alu instid0(VALU_DEP_1)
	v_cndmask_b32_e64 v80, 0, 1, s0
	v_not_b32_e32 v84, v76
	v_cmp_gt_i32_e64 s0, 0, v76
	v_not_b32_e32 v76, v78
	v_lshlrev_b32_e32 v82, 26, v8
	v_cmp_ne_u32_e32 vcc_lo, 0, v80
	v_ashrrev_i32_e32 v84, 31, v84
	v_lshlrev_b32_e32 v83, 25, v8
	v_ashrrev_i32_e32 v76, 31, v76
	v_lshlrev_b32_e32 v80, 24, v8
	v_xor_b32_e32 v9, vcc_lo, v9
	v_cmp_gt_i32_e32 vcc_lo, 0, v78
	v_not_b32_e32 v78, v79
	v_xor_b32_e32 v84, s0, v84
	v_cmp_gt_i32_e64 s0, 0, v79
	v_and_b32_e32 v9, exec_lo, v9
	v_not_b32_e32 v79, v81
	v_ashrrev_i32_e32 v78, 31, v78
	v_xor_b32_e32 v76, vcc_lo, v76
	v_cmp_gt_i32_e32 vcc_lo, 0, v81
	v_and_b32_e32 v9, v9, v84
	v_not_b32_e32 v81, v82
	v_ashrrev_i32_e32 v79, 31, v79
	v_xor_b32_e32 v78, s0, v78
	v_cmp_gt_i32_e64 s0, 0, v82
	v_and_b32_e32 v9, v9, v76
	v_not_b32_e32 v76, v83
	v_ashrrev_i32_e32 v81, 31, v81
	v_xor_b32_e32 v79, vcc_lo, v79
	v_cmp_gt_i32_e32 vcc_lo, 0, v83
	v_and_b32_e32 v9, v9, v78
	v_not_b32_e32 v78, v80
	v_ashrrev_i32_e32 v76, 31, v76
	v_xor_b32_e32 v81, s0, v81
	v_lshl_add_u32 v8, v8, 4, v8
	v_and_b32_e32 v9, v9, v79
	v_cmp_gt_i32_e64 s0, 0, v80
	v_ashrrev_i32_e32 v78, 31, v78
	v_xor_b32_e32 v76, vcc_lo, v76
	s_delay_alu instid0(VALU_DEP_4) | instskip(SKIP_1) | instid1(VALU_DEP_4)
	v_and_b32_e32 v9, v9, v81
	v_add_lshl_u32 v81, v3, v8, 2
	v_xor_b32_e32 v8, s0, v78
	s_delay_alu instid0(VALU_DEP_3) | instskip(SKIP_2) | instid1(VALU_DEP_1)
	v_and_b32_e32 v9, v9, v76
	ds_load_b32 v79, v81 offset:64
	; wave barrier
	v_and_b32_e32 v8, v9, v8
	v_mbcnt_lo_u32_b32 v80, v8, 0
	v_cmp_ne_u32_e64 s0, 0, v8
	s_delay_alu instid0(VALU_DEP_2) | instskip(NEXT) | instid1(VALU_DEP_2)
	v_cmp_eq_u32_e32 vcc_lo, 0, v80
	s_and_b32 s1, s0, vcc_lo
	s_delay_alu instid0(SALU_CYCLE_1)
	s_and_saveexec_b32 s0, s1
	s_cbranch_execz .LBB25_259
; %bb.258:
	s_waitcnt lgkmcnt(0)
	v_bcnt_u32_b32 v8, v8, v79
	ds_store_b32 v81, v8 offset:64
.LBB25_259:
	s_or_b32 exec_lo, exec_lo, s0
	v_xor_b32_e32 v78, 0x80000000, v7
	; wave barrier
	s_delay_alu instid0(VALU_DEP_1) | instskip(NEXT) | instid1(VALU_DEP_1)
	v_lshrrev_b32_e32 v7, s64, v78
	v_and_b32_e32 v7, s6, v7
	s_delay_alu instid0(VALU_DEP_1)
	v_and_b32_e32 v8, 1, v7
	v_lshlrev_b32_e32 v9, 30, v7
	v_lshlrev_b32_e32 v76, 29, v7
	;; [unrolled: 1-line block ×4, first 2 shown]
	v_add_co_u32 v8, s0, v8, -1
	s_delay_alu instid0(VALU_DEP_1)
	v_cndmask_b32_e64 v83, 0, 1, s0
	v_not_b32_e32 v87, v9
	v_cmp_gt_i32_e64 s0, 0, v9
	v_not_b32_e32 v9, v76
	v_lshlrev_b32_e32 v85, 26, v7
	v_cmp_ne_u32_e32 vcc_lo, 0, v83
	v_ashrrev_i32_e32 v87, 31, v87
	v_lshlrev_b32_e32 v86, 25, v7
	v_ashrrev_i32_e32 v9, 31, v9
	v_lshlrev_b32_e32 v83, 24, v7
	v_xor_b32_e32 v8, vcc_lo, v8
	v_cmp_gt_i32_e32 vcc_lo, 0, v76
	v_not_b32_e32 v76, v82
	v_xor_b32_e32 v87, s0, v87
	v_cmp_gt_i32_e64 s0, 0, v82
	v_and_b32_e32 v8, exec_lo, v8
	v_not_b32_e32 v82, v84
	v_ashrrev_i32_e32 v76, 31, v76
	v_xor_b32_e32 v9, vcc_lo, v9
	v_cmp_gt_i32_e32 vcc_lo, 0, v84
	v_and_b32_e32 v8, v8, v87
	v_not_b32_e32 v84, v85
	v_ashrrev_i32_e32 v82, 31, v82
	v_xor_b32_e32 v76, s0, v76
	v_cmp_gt_i32_e64 s0, 0, v85
	v_and_b32_e32 v8, v8, v9
	v_not_b32_e32 v9, v86
	v_ashrrev_i32_e32 v84, 31, v84
	v_xor_b32_e32 v82, vcc_lo, v82
	v_cmp_gt_i32_e32 vcc_lo, 0, v86
	v_and_b32_e32 v8, v8, v76
	v_not_b32_e32 v76, v83
	v_ashrrev_i32_e32 v9, 31, v9
	v_xor_b32_e32 v84, s0, v84
	v_lshl_add_u32 v7, v7, 4, v7
	v_and_b32_e32 v8, v8, v82
	v_cmp_gt_i32_e64 s0, 0, v83
	v_ashrrev_i32_e32 v76, 31, v76
	v_xor_b32_e32 v9, vcc_lo, v9
	v_add_lshl_u32 v85, v3, v7, 2
	v_and_b32_e32 v8, v8, v84
	s_delay_alu instid0(VALU_DEP_4) | instskip(SKIP_2) | instid1(VALU_DEP_1)
	v_xor_b32_e32 v7, s0, v76
	ds_load_b32 v83, v85 offset:64
	v_and_b32_e32 v8, v8, v9
	; wave barrier
	v_and_b32_e32 v7, v8, v7
	s_delay_alu instid0(VALU_DEP_1) | instskip(SKIP_1) | instid1(VALU_DEP_2)
	v_mbcnt_lo_u32_b32 v84, v7, 0
	v_cmp_ne_u32_e64 s0, 0, v7
	v_cmp_eq_u32_e32 vcc_lo, 0, v84
	s_delay_alu instid0(VALU_DEP_2) | instskip(NEXT) | instid1(SALU_CYCLE_1)
	s_and_b32 s1, s0, vcc_lo
	s_and_saveexec_b32 s0, s1
	s_cbranch_execz .LBB25_261
; %bb.260:
	s_waitcnt lgkmcnt(0)
	v_bcnt_u32_b32 v7, v7, v83
	ds_store_b32 v85, v7 offset:64
.LBB25_261:
	s_or_b32 exec_lo, exec_lo, s0
	v_xor_b32_e32 v82, 0x80000000, v6
	; wave barrier
	s_delay_alu instid0(VALU_DEP_1) | instskip(NEXT) | instid1(VALU_DEP_1)
	v_lshrrev_b32_e32 v6, s64, v82
	v_and_b32_e32 v6, s6, v6
	s_delay_alu instid0(VALU_DEP_1)
	v_and_b32_e32 v7, 1, v6
	v_lshlrev_b32_e32 v8, 30, v6
	v_lshlrev_b32_e32 v9, 29, v6
	;; [unrolled: 1-line block ×4, first 2 shown]
	v_add_co_u32 v7, s0, v7, -1
	s_delay_alu instid0(VALU_DEP_1)
	v_cndmask_b32_e64 v86, 0, 1, s0
	v_not_b32_e32 v90, v8
	v_cmp_gt_i32_e64 s0, 0, v8
	v_not_b32_e32 v8, v9
	v_lshlrev_b32_e32 v88, 26, v6
	v_cmp_ne_u32_e32 vcc_lo, 0, v86
	v_ashrrev_i32_e32 v90, 31, v90
	v_lshlrev_b32_e32 v89, 25, v6
	v_ashrrev_i32_e32 v8, 31, v8
	v_lshlrev_b32_e32 v86, 24, v6
	v_xor_b32_e32 v7, vcc_lo, v7
	v_cmp_gt_i32_e32 vcc_lo, 0, v9
	v_not_b32_e32 v9, v76
	v_xor_b32_e32 v90, s0, v90
	v_cmp_gt_i32_e64 s0, 0, v76
	v_and_b32_e32 v7, exec_lo, v7
	v_not_b32_e32 v76, v87
	v_ashrrev_i32_e32 v9, 31, v9
	v_xor_b32_e32 v8, vcc_lo, v8
	v_cmp_gt_i32_e32 vcc_lo, 0, v87
	v_and_b32_e32 v7, v7, v90
	v_not_b32_e32 v87, v88
	v_ashrrev_i32_e32 v76, 31, v76
	v_xor_b32_e32 v9, s0, v9
	v_cmp_gt_i32_e64 s0, 0, v88
	v_and_b32_e32 v7, v7, v8
	v_not_b32_e32 v8, v89
	v_ashrrev_i32_e32 v87, 31, v87
	v_xor_b32_e32 v76, vcc_lo, v76
	v_cmp_gt_i32_e32 vcc_lo, 0, v89
	v_and_b32_e32 v7, v7, v9
	v_not_b32_e32 v9, v86
	v_ashrrev_i32_e32 v8, 31, v8
	v_xor_b32_e32 v87, s0, v87
	v_lshl_add_u32 v6, v6, 4, v6
	v_and_b32_e32 v7, v7, v76
	v_cmp_gt_i32_e64 s0, 0, v86
	v_ashrrev_i32_e32 v9, 31, v9
	v_xor_b32_e32 v8, vcc_lo, v8
	v_add_lshl_u32 v89, v3, v6, 2
	v_and_b32_e32 v7, v7, v87
	s_delay_alu instid0(VALU_DEP_4) | instskip(SKIP_2) | instid1(VALU_DEP_1)
	v_xor_b32_e32 v6, s0, v9
	ds_load_b32 v87, v89 offset:64
	v_and_b32_e32 v7, v7, v8
	; wave barrier
	v_and_b32_e32 v6, v7, v6
	s_delay_alu instid0(VALU_DEP_1) | instskip(SKIP_1) | instid1(VALU_DEP_2)
	v_mbcnt_lo_u32_b32 v88, v6, 0
	v_cmp_ne_u32_e64 s0, 0, v6
	v_cmp_eq_u32_e32 vcc_lo, 0, v88
	s_delay_alu instid0(VALU_DEP_2) | instskip(NEXT) | instid1(SALU_CYCLE_1)
	s_and_b32 s1, s0, vcc_lo
	s_and_saveexec_b32 s0, s1
	s_cbranch_execz .LBB25_263
; %bb.262:
	s_waitcnt lgkmcnt(0)
	v_bcnt_u32_b32 v6, v6, v87
	ds_store_b32 v89, v6 offset:64
.LBB25_263:
	s_or_b32 exec_lo, exec_lo, s0
	v_xor_b32_e32 v86, 0x80000000, v5
	; wave barrier
	s_delay_alu instid0(VALU_DEP_1) | instskip(NEXT) | instid1(VALU_DEP_1)
	v_lshrrev_b32_e32 v5, s64, v86
	v_and_b32_e32 v5, s6, v5
	s_delay_alu instid0(VALU_DEP_1)
	v_and_b32_e32 v6, 1, v5
	v_lshlrev_b32_e32 v7, 30, v5
	v_lshlrev_b32_e32 v8, 29, v5
	;; [unrolled: 1-line block ×4, first 2 shown]
	v_add_co_u32 v6, s0, v6, -1
	s_delay_alu instid0(VALU_DEP_1)
	v_cndmask_b32_e64 v76, 0, 1, s0
	v_not_b32_e32 v93, v7
	v_cmp_gt_i32_e64 s0, 0, v7
	v_not_b32_e32 v7, v8
	v_lshlrev_b32_e32 v91, 26, v5
	v_cmp_ne_u32_e32 vcc_lo, 0, v76
	v_ashrrev_i32_e32 v93, 31, v93
	v_lshlrev_b32_e32 v92, 25, v5
	v_ashrrev_i32_e32 v7, 31, v7
	v_lshlrev_b32_e32 v76, 24, v5
	v_xor_b32_e32 v6, vcc_lo, v6
	v_cmp_gt_i32_e32 vcc_lo, 0, v8
	v_not_b32_e32 v8, v9
	v_xor_b32_e32 v93, s0, v93
	v_cmp_gt_i32_e64 s0, 0, v9
	v_and_b32_e32 v6, exec_lo, v6
	v_not_b32_e32 v9, v90
	v_ashrrev_i32_e32 v8, 31, v8
	v_xor_b32_e32 v7, vcc_lo, v7
	v_cmp_gt_i32_e32 vcc_lo, 0, v90
	v_and_b32_e32 v6, v6, v93
	v_not_b32_e32 v90, v91
	v_ashrrev_i32_e32 v9, 31, v9
	v_xor_b32_e32 v8, s0, v8
	v_cmp_gt_i32_e64 s0, 0, v91
	v_and_b32_e32 v6, v6, v7
	v_not_b32_e32 v7, v92
	v_ashrrev_i32_e32 v90, 31, v90
	v_xor_b32_e32 v9, vcc_lo, v9
	v_cmp_gt_i32_e32 vcc_lo, 0, v92
	v_and_b32_e32 v6, v6, v8
	v_not_b32_e32 v8, v76
	v_ashrrev_i32_e32 v7, 31, v7
	v_xor_b32_e32 v90, s0, v90
	v_lshl_add_u32 v5, v5, 4, v5
	v_and_b32_e32 v6, v6, v9
	v_cmp_gt_i32_e64 s0, 0, v76
	v_ashrrev_i32_e32 v8, 31, v8
	v_xor_b32_e32 v7, vcc_lo, v7
	v_add_lshl_u32 v93, v3, v5, 2
	v_and_b32_e32 v6, v6, v90
	s_delay_alu instid0(VALU_DEP_4) | instskip(SKIP_2) | instid1(VALU_DEP_1)
	v_xor_b32_e32 v5, s0, v8
	ds_load_b32 v91, v93 offset:64
	v_and_b32_e32 v6, v6, v7
	; wave barrier
	v_and_b32_e32 v5, v6, v5
	s_delay_alu instid0(VALU_DEP_1) | instskip(SKIP_1) | instid1(VALU_DEP_2)
	v_mbcnt_lo_u32_b32 v92, v5, 0
	v_cmp_ne_u32_e64 s0, 0, v5
	v_cmp_eq_u32_e32 vcc_lo, 0, v92
	s_delay_alu instid0(VALU_DEP_2) | instskip(NEXT) | instid1(SALU_CYCLE_1)
	s_and_b32 s1, s0, vcc_lo
	s_and_saveexec_b32 s0, s1
	s_cbranch_execz .LBB25_265
; %bb.264:
	s_waitcnt lgkmcnt(0)
	v_bcnt_u32_b32 v5, v5, v91
	ds_store_b32 v93, v5 offset:64
.LBB25_265:
	s_or_b32 exec_lo, exec_lo, s0
	v_xor_b32_e32 v90, 0x80000000, v4
	; wave barrier
	s_delay_alu instid0(VALU_DEP_1) | instskip(NEXT) | instid1(VALU_DEP_1)
	v_lshrrev_b32_e32 v4, s64, v90
	v_and_b32_e32 v4, s6, v4
	s_delay_alu instid0(VALU_DEP_1)
	v_and_b32_e32 v5, 1, v4
	v_lshlrev_b32_e32 v6, 30, v4
	v_lshlrev_b32_e32 v7, 29, v4
	;; [unrolled: 1-line block ×4, first 2 shown]
	v_add_co_u32 v5, s0, v5, -1
	s_delay_alu instid0(VALU_DEP_1)
	v_cndmask_b32_e64 v9, 0, 1, s0
	v_not_b32_e32 v96, v6
	v_cmp_gt_i32_e64 s0, 0, v6
	v_not_b32_e32 v6, v7
	v_lshlrev_b32_e32 v94, 26, v4
	v_cmp_ne_u32_e32 vcc_lo, 0, v9
	v_ashrrev_i32_e32 v96, 31, v96
	v_lshlrev_b32_e32 v95, 25, v4
	v_ashrrev_i32_e32 v6, 31, v6
	v_lshlrev_b32_e32 v9, 24, v4
	v_xor_b32_e32 v5, vcc_lo, v5
	v_cmp_gt_i32_e32 vcc_lo, 0, v7
	v_not_b32_e32 v7, v8
	v_xor_b32_e32 v96, s0, v96
	v_cmp_gt_i32_e64 s0, 0, v8
	v_and_b32_e32 v5, exec_lo, v5
	v_not_b32_e32 v8, v76
	v_ashrrev_i32_e32 v7, 31, v7
	v_xor_b32_e32 v6, vcc_lo, v6
	v_cmp_gt_i32_e32 vcc_lo, 0, v76
	v_and_b32_e32 v5, v5, v96
	v_not_b32_e32 v76, v94
	v_ashrrev_i32_e32 v8, 31, v8
	v_xor_b32_e32 v7, s0, v7
	v_cmp_gt_i32_e64 s0, 0, v94
	v_and_b32_e32 v5, v5, v6
	v_not_b32_e32 v6, v95
	v_ashrrev_i32_e32 v76, 31, v76
	v_xor_b32_e32 v8, vcc_lo, v8
	v_cmp_gt_i32_e32 vcc_lo, 0, v95
	v_and_b32_e32 v5, v5, v7
	v_not_b32_e32 v7, v9
	v_ashrrev_i32_e32 v6, 31, v6
	v_xor_b32_e32 v76, s0, v76
	v_lshl_add_u32 v4, v4, 4, v4
	v_and_b32_e32 v5, v5, v8
	v_cmp_gt_i32_e64 s0, 0, v9
	v_ashrrev_i32_e32 v7, 31, v7
	v_xor_b32_e32 v6, vcc_lo, v6
	v_add_lshl_u32 v97, v3, v4, 2
	v_and_b32_e32 v5, v5, v76
	s_delay_alu instid0(VALU_DEP_4) | instskip(SKIP_2) | instid1(VALU_DEP_1)
	v_xor_b32_e32 v4, s0, v7
	ds_load_b32 v95, v97 offset:64
	v_and_b32_e32 v5, v5, v6
	; wave barrier
	v_and_b32_e32 v4, v5, v4
	s_delay_alu instid0(VALU_DEP_1) | instskip(SKIP_1) | instid1(VALU_DEP_2)
	v_mbcnt_lo_u32_b32 v96, v4, 0
	v_cmp_ne_u32_e64 s0, 0, v4
	v_cmp_eq_u32_e32 vcc_lo, 0, v96
	s_delay_alu instid0(VALU_DEP_2) | instskip(NEXT) | instid1(SALU_CYCLE_1)
	s_and_b32 s1, s0, vcc_lo
	s_and_saveexec_b32 s0, s1
	s_cbranch_execz .LBB25_267
; %bb.266:
	s_waitcnt lgkmcnt(0)
	v_bcnt_u32_b32 v4, v4, v95
	ds_store_b32 v97, v4 offset:64
.LBB25_267:
	s_or_b32 exec_lo, exec_lo, s0
	v_xor_b32_e32 v94, 0x80000000, v2
	; wave barrier
	v_add_nc_u32_e32 v101, 64, v15
	s_delay_alu instid0(VALU_DEP_2) | instskip(NEXT) | instid1(VALU_DEP_1)
	v_lshrrev_b32_e32 v2, s64, v94
	v_and_b32_e32 v2, s6, v2
	s_delay_alu instid0(VALU_DEP_1)
	v_and_b32_e32 v4, 1, v2
	v_lshlrev_b32_e32 v5, 30, v2
	v_lshlrev_b32_e32 v6, 29, v2
	;; [unrolled: 1-line block ×4, first 2 shown]
	v_add_co_u32 v4, s0, v4, -1
	s_delay_alu instid0(VALU_DEP_1)
	v_cndmask_b32_e64 v8, 0, 1, s0
	v_not_b32_e32 v99, v5
	v_cmp_gt_i32_e64 s0, 0, v5
	v_not_b32_e32 v5, v6
	v_lshlrev_b32_e32 v76, 26, v2
	v_cmp_ne_u32_e32 vcc_lo, 0, v8
	v_ashrrev_i32_e32 v99, 31, v99
	v_lshlrev_b32_e32 v98, 25, v2
	v_ashrrev_i32_e32 v5, 31, v5
	v_lshlrev_b32_e32 v8, 24, v2
	v_xor_b32_e32 v4, vcc_lo, v4
	v_cmp_gt_i32_e32 vcc_lo, 0, v6
	v_not_b32_e32 v6, v7
	v_xor_b32_e32 v99, s0, v99
	v_cmp_gt_i32_e64 s0, 0, v7
	v_and_b32_e32 v4, exec_lo, v4
	v_not_b32_e32 v7, v9
	v_ashrrev_i32_e32 v6, 31, v6
	v_xor_b32_e32 v5, vcc_lo, v5
	v_cmp_gt_i32_e32 vcc_lo, 0, v9
	v_and_b32_e32 v4, v4, v99
	v_not_b32_e32 v9, v76
	v_ashrrev_i32_e32 v7, 31, v7
	v_xor_b32_e32 v6, s0, v6
	v_cmp_gt_i32_e64 s0, 0, v76
	v_and_b32_e32 v4, v4, v5
	v_not_b32_e32 v5, v98
	v_ashrrev_i32_e32 v9, 31, v9
	v_xor_b32_e32 v7, vcc_lo, v7
	v_cmp_gt_i32_e32 vcc_lo, 0, v98
	v_and_b32_e32 v4, v4, v6
	v_not_b32_e32 v6, v8
	v_ashrrev_i32_e32 v5, 31, v5
	v_xor_b32_e32 v9, s0, v9
	v_lshl_add_u32 v2, v2, 4, v2
	v_and_b32_e32 v4, v4, v7
	v_cmp_gt_i32_e64 s0, 0, v8
	v_ashrrev_i32_e32 v6, 31, v6
	v_xor_b32_e32 v5, vcc_lo, v5
	v_add_lshl_u32 v100, v3, v2, 2
	v_and_b32_e32 v4, v4, v9
	s_delay_alu instid0(VALU_DEP_4) | instskip(SKIP_2) | instid1(VALU_DEP_1)
	v_xor_b32_e32 v2, s0, v6
	ds_load_b32 v98, v100 offset:64
	v_and_b32_e32 v3, v4, v5
	; wave barrier
	v_and_b32_e32 v2, v3, v2
	s_delay_alu instid0(VALU_DEP_1) | instskip(SKIP_1) | instid1(VALU_DEP_2)
	v_mbcnt_lo_u32_b32 v99, v2, 0
	v_cmp_ne_u32_e64 s0, 0, v2
	v_cmp_eq_u32_e32 vcc_lo, 0, v99
	s_delay_alu instid0(VALU_DEP_2) | instskip(NEXT) | instid1(SALU_CYCLE_1)
	s_and_b32 s1, s0, vcc_lo
	s_and_saveexec_b32 s0, s1
	s_cbranch_execz .LBB25_269
; %bb.268:
	s_waitcnt lgkmcnt(0)
	v_bcnt_u32_b32 v2, v2, v98
	ds_store_b32 v100, v2 offset:64
.LBB25_269:
	s_or_b32 exec_lo, exec_lo, s0
	; wave barrier
	s_waitcnt lgkmcnt(0)
	s_barrier
	buffer_gl0_inv
	ds_load_2addr_b32 v[8:9], v15 offset0:16 offset1:17
	ds_load_2addr_b32 v[6:7], v101 offset0:2 offset1:3
	;; [unrolled: 1-line block ×4, first 2 shown]
	ds_load_b32 v76, v101 offset:32
	v_min_u32_e32 v13, 0x1e0, v13
	s_mov_b32 s7, exec_lo
	s_delay_alu instid0(VALU_DEP_1) | instskip(SKIP_3) | instid1(VALU_DEP_1)
	v_or_b32_e32 v104, 31, v13
	s_waitcnt lgkmcnt(3)
	v_add3_u32 v102, v9, v8, v6
	s_waitcnt lgkmcnt(2)
	v_add3_u32 v102, v102, v7, v4
	s_waitcnt lgkmcnt(1)
	s_delay_alu instid0(VALU_DEP_1) | instskip(SKIP_1) | instid1(VALU_DEP_1)
	v_add3_u32 v102, v102, v5, v2
	s_waitcnt lgkmcnt(0)
	v_add3_u32 v76, v102, v3, v76
	v_and_b32_e32 v102, 15, v11
	s_delay_alu instid0(VALU_DEP_2) | instskip(NEXT) | instid1(VALU_DEP_2)
	v_mov_b32_dpp v103, v76 row_shr:1 row_mask:0xf bank_mask:0xf
	v_cmp_eq_u32_e32 vcc_lo, 0, v102
	v_cmp_lt_u32_e64 s0, 1, v102
	v_cmp_lt_u32_e64 s1, 3, v102
	;; [unrolled: 1-line block ×3, first 2 shown]
	v_cndmask_b32_e64 v103, v103, 0, vcc_lo
	s_delay_alu instid0(VALU_DEP_1) | instskip(NEXT) | instid1(VALU_DEP_1)
	v_add_nc_u32_e32 v76, v103, v76
	v_mov_b32_dpp v103, v76 row_shr:2 row_mask:0xf bank_mask:0xf
	s_delay_alu instid0(VALU_DEP_1) | instskip(NEXT) | instid1(VALU_DEP_1)
	v_cndmask_b32_e64 v103, 0, v103, s0
	v_add_nc_u32_e32 v76, v76, v103
	s_delay_alu instid0(VALU_DEP_1) | instskip(NEXT) | instid1(VALU_DEP_1)
	v_mov_b32_dpp v103, v76 row_shr:4 row_mask:0xf bank_mask:0xf
	v_cndmask_b32_e64 v103, 0, v103, s1
	s_delay_alu instid0(VALU_DEP_1) | instskip(NEXT) | instid1(VALU_DEP_1)
	v_add_nc_u32_e32 v76, v76, v103
	v_mov_b32_dpp v103, v76 row_shr:8 row_mask:0xf bank_mask:0xf
	s_delay_alu instid0(VALU_DEP_1) | instskip(SKIP_1) | instid1(VALU_DEP_2)
	v_cndmask_b32_e64 v102, 0, v103, s2
	v_bfe_i32 v103, v11, 4, 1
	v_add_nc_u32_e32 v76, v76, v102
	ds_swizzle_b32 v102, v76 offset:swizzle(BROADCAST,32,15)
	s_waitcnt lgkmcnt(0)
	v_and_b32_e32 v103, v103, v102
	v_lshrrev_b32_e32 v102, 5, v1
	s_delay_alu instid0(VALU_DEP_2)
	v_add_nc_u32_e32 v13, v76, v103
	v_cmpx_eq_u32_e64 v104, v1
	s_cbranch_execz .LBB25_271
; %bb.270:
	s_delay_alu instid0(VALU_DEP_3)
	v_lshlrev_b32_e32 v76, 2, v102
	ds_store_b32 v76, v13
.LBB25_271:
	s_or_b32 exec_lo, exec_lo, s7
	v_lshlrev_b32_e32 v76, 2, v1
	s_mov_b32 s7, exec_lo
	s_waitcnt lgkmcnt(0)
	s_barrier
	buffer_gl0_inv
	v_cmpx_gt_u32_e32 16, v1
	s_cbranch_execz .LBB25_273
; %bb.272:
	ds_load_b32 v103, v76
	s_waitcnt lgkmcnt(0)
	v_mov_b32_dpp v104, v103 row_shr:1 row_mask:0xf bank_mask:0xf
	s_delay_alu instid0(VALU_DEP_1) | instskip(NEXT) | instid1(VALU_DEP_1)
	v_cndmask_b32_e64 v104, v104, 0, vcc_lo
	v_add_nc_u32_e32 v103, v104, v103
	s_delay_alu instid0(VALU_DEP_1) | instskip(NEXT) | instid1(VALU_DEP_1)
	v_mov_b32_dpp v104, v103 row_shr:2 row_mask:0xf bank_mask:0xf
	v_cndmask_b32_e64 v104, 0, v104, s0
	s_delay_alu instid0(VALU_DEP_1) | instskip(NEXT) | instid1(VALU_DEP_1)
	v_add_nc_u32_e32 v103, v103, v104
	v_mov_b32_dpp v104, v103 row_shr:4 row_mask:0xf bank_mask:0xf
	s_delay_alu instid0(VALU_DEP_1) | instskip(NEXT) | instid1(VALU_DEP_1)
	v_cndmask_b32_e64 v104, 0, v104, s1
	v_add_nc_u32_e32 v103, v103, v104
	s_delay_alu instid0(VALU_DEP_1) | instskip(NEXT) | instid1(VALU_DEP_1)
	v_mov_b32_dpp v104, v103 row_shr:8 row_mask:0xf bank_mask:0xf
	v_cndmask_b32_e64 v104, 0, v104, s2
	s_delay_alu instid0(VALU_DEP_1)
	v_add_nc_u32_e32 v103, v103, v104
	ds_store_b32 v76, v103
.LBB25_273:
	s_or_b32 exec_lo, exec_lo, s7
	v_mov_b32_e32 v103, 0
	s_mov_b32 s0, exec_lo
	s_waitcnt lgkmcnt(0)
	s_barrier
	buffer_gl0_inv
	v_cmpx_lt_u32_e32 31, v1
	s_cbranch_execz .LBB25_275
; %bb.274:
	v_lshl_add_u32 v102, v102, 2, -4
	ds_load_b32 v103, v102
.LBB25_275:
	s_or_b32 exec_lo, exec_lo, s0
	v_add_nc_u32_e32 v102, -1, v11
	v_cmp_lt_u32_e64 s0, 0xff, v1
	s_waitcnt lgkmcnt(0)
	v_add_nc_u32_e32 v13, v103, v13
	s_delay_alu instid0(VALU_DEP_3) | instskip(SKIP_2) | instid1(VALU_DEP_2)
	v_cmp_gt_i32_e32 vcc_lo, 0, v102
	v_cndmask_b32_e32 v102, v102, v11, vcc_lo
	v_cmp_eq_u32_e32 vcc_lo, 0, v11
	v_lshlrev_b32_e32 v102, 2, v102
	ds_bpermute_b32 v13, v102, v13
	s_waitcnt lgkmcnt(0)
	v_cndmask_b32_e32 v13, v13, v103, vcc_lo
	v_cmp_ne_u32_e32 vcc_lo, 0, v1
	s_delay_alu instid0(VALU_DEP_2) | instskip(SKIP_1) | instid1(VALU_DEP_2)
	v_cndmask_b32_e32 v13, 0, v13, vcc_lo
	v_cmp_gt_u32_e32 vcc_lo, 0x100, v1
	v_add_nc_u32_e32 v8, v13, v8
	s_delay_alu instid0(VALU_DEP_1) | instskip(NEXT) | instid1(VALU_DEP_1)
	v_add_nc_u32_e32 v9, v8, v9
	v_add_nc_u32_e32 v6, v9, v6
	s_delay_alu instid0(VALU_DEP_1) | instskip(NEXT) | instid1(VALU_DEP_1)
	v_add_nc_u32_e32 v7, v6, v7
	v_add_nc_u32_e32 v4, v7, v4
	s_delay_alu instid0(VALU_DEP_1) | instskip(NEXT) | instid1(VALU_DEP_1)
	v_add_nc_u32_e32 v5, v4, v5
	v_add_nc_u32_e32 v2, v5, v2
	s_delay_alu instid0(VALU_DEP_1)
	v_add_nc_u32_e32 v3, v2, v3
	ds_store_2addr_b32 v15, v13, v8 offset0:16 offset1:17
	ds_store_2addr_b32 v101, v9, v6 offset0:2 offset1:3
	;; [unrolled: 1-line block ×4, first 2 shown]
	ds_store_b32 v101, v3 offset:32
	s_waitcnt lgkmcnt(0)
	s_barrier
	buffer_gl0_inv
	ds_load_b32 v2, v16 offset:64
	ds_load_b32 v5, v20 offset:64
	;; [unrolled: 1-line block ×22, first 2 shown]
	v_mov_b32_e32 v3, 0
	v_mov_b32_e32 v4, 0
                                        ; implicit-def: $vgpr13
	s_and_saveexec_b32 s2, vcc_lo
	s_cbranch_execz .LBB25_279
; %bb.276:
	v_mul_u32_u24_e32 v3, 17, v1
	s_mov_b32 s3, exec_lo
	s_delay_alu instid0(VALU_DEP_1)
	v_dual_mov_b32 v4, 0x2c00 :: v_dual_lshlrev_b32 v13, 2, v3
	ds_load_b32 v3, v13 offset:64
	v_cmpx_ne_u32_e32 0xff, v1
	s_cbranch_execz .LBB25_278
; %bb.277:
	ds_load_b32 v4, v13 offset:132
.LBB25_278:
	s_or_b32 exec_lo, exec_lo, s3
	s_waitcnt lgkmcnt(0)
	v_sub_nc_u32_e32 v13, v4, v3
	v_mov_b32_e32 v4, 0
.LBB25_279:
	s_or_b32 exec_lo, exec_lo, s2
	s_waitcnt lgkmcnt(21)
	v_add_nc_u32_e32 v14, v2, v14
	s_waitcnt lgkmcnt(20)
	v_add3_u32 v15, v19, v18, v5
	s_waitcnt lgkmcnt(19)
	v_add3_u32 v16, v23, v22, v6
	;; [unrolled: 2-line block ×4, first 2 shown]
	v_lshlrev_b32_e32 v2, 2, v14
	v_lshlrev_b32_e32 v5, 2, v15
	s_waitcnt lgkmcnt(16)
	v_add3_u32 v20, v35, v34, v9
	s_waitcnt lgkmcnt(15)
	v_add3_u32 v22, v39, v38, v24
	;; [unrolled: 2-line block ×3, first 2 shown]
	s_waitcnt lgkmcnt(0)
	s_barrier
	buffer_gl0_inv
	ds_store_b32 v2, v10 offset:2048
	ds_store_b32 v5, v0 offset:2048
	v_lshlrev_b32_e32 v0, 2, v16
	v_add3_u32 v24, v47, v46, v32
	v_lshlrev_b32_e32 v2, 2, v18
	v_add3_u32 v26, v52, v51, v36
	;; [unrolled: 2-line block ×5, first 2 shown]
	ds_store_b32 v0, v17 offset:2048
	ds_store_b32 v2, v21 offset:2048
	;; [unrolled: 1-line block ×5, first 2 shown]
	v_lshlrev_b32_e32 v0, 2, v23
	v_add3_u32 v31, v67, v66, v53
	v_lshlrev_b32_e32 v2, 2, v24
	v_add3_u32 v32, v71, v70, v58
	v_lshlrev_b32_e32 v5, 2, v26
	v_add3_u32 v34, v75, v74, v62
	v_lshlrev_b32_e32 v6, 2, v27
	v_add3_u32 v35, v80, v79, v65
	v_lshlrev_b32_e32 v7, 2, v28
	v_add3_u32 v36, v84, v83, v68
	v_add3_u32 v38, v88, v87, v72
	ds_store_b32 v0, v37 offset:2048
	ds_store_b32 v2, v41 offset:2048
	;; [unrolled: 1-line block ×5, first 2 shown]
	v_lshlrev_b32_e32 v0, 2, v30
	v_lshlrev_b32_e32 v2, 2, v31
	v_add3_u32 v39, v92, v91, v77
	v_lshlrev_b32_e32 v5, 2, v32
	v_add3_u32 v40, v96, v95, v81
	;; [unrolled: 2-line block ×3, first 2 shown]
	v_lshlrev_b32_e32 v7, 2, v35
	ds_store_b32 v0, v59 offset:2048
	ds_store_b32 v2, v54 offset:2048
	;; [unrolled: 1-line block ×5, first 2 shown]
	v_lshlrev_b32_e32 v0, 2, v36
	v_lshlrev_b32_e32 v2, 2, v38
	;; [unrolled: 1-line block ×5, first 2 shown]
	ds_store_b32 v0, v78 offset:2048
	ds_store_b32 v2, v82 offset:2048
	;; [unrolled: 1-line block ×5, first 2 shown]
	s_waitcnt lgkmcnt(0)
	s_barrier
	buffer_gl0_inv
	s_and_saveexec_b32 s1, s0
	s_delay_alu instid0(SALU_CYCLE_1)
	s_xor_b32 s0, exec_lo, s1
; %bb.280:
	v_mov_b32_e32 v2, 0
; %bb.281:
	s_and_not1_saveexec_b32 s1, s0
	s_cbranch_execz .LBB25_291
; %bb.282:
	v_lshl_or_b32 v7, s15, 8, v1
	v_mov_b32_e32 v8, 0
	v_or_b32_e32 v2, 2.0, v13
	v_mov_b32_e32 v0, 0
	s_mov_b32 s2, 0
	s_mov_b32 s3, s15
	v_lshlrev_b64 v[5:6], 2, v[7:8]
	s_delay_alu instid0(VALU_DEP_1) | instskip(NEXT) | instid1(VALU_DEP_1)
	v_add_co_u32 v5, s0, s68, v5
	v_add_co_ci_u32_e64 v6, s0, s69, v6, s0
                                        ; implicit-def: $sgpr0
	global_store_b32 v[5:6], v2, off
	s_branch .LBB25_285
	.p2align	6
.LBB25_283:                             ;   in Loop: Header=BB25_285 Depth=1
	s_or_b32 exec_lo, exec_lo, s8
.LBB25_284:                             ;   in Loop: Header=BB25_285 Depth=1
	s_delay_alu instid0(SALU_CYCLE_1) | instskip(SKIP_2) | instid1(VALU_DEP_2)
	s_or_b32 exec_lo, exec_lo, s7
	v_and_b32_e32 v7, 0x3fffffff, v7
	v_cmp_eq_u32_e64 s0, 0x80000000, v2
	v_add_nc_u32_e32 v0, v7, v0
	s_delay_alu instid0(VALU_DEP_2) | instskip(NEXT) | instid1(SALU_CYCLE_1)
	s_and_b32 s7, exec_lo, s0
	s_or_b32 s2, s7, s2
	s_delay_alu instid0(SALU_CYCLE_1)
	s_and_not1_b32 exec_lo, exec_lo, s2
	s_cbranch_execz .LBB25_290
.LBB25_285:                             ; =>This Loop Header: Depth=1
                                        ;     Child Loop BB25_288 Depth 2
	s_or_b32 s0, s0, exec_lo
	s_cmp_eq_u32 s3, 0
	s_cbranch_scc1 .LBB25_289
; %bb.286:                              ;   in Loop: Header=BB25_285 Depth=1
	s_add_i32 s3, s3, -1
	s_mov_b32 s7, exec_lo
	v_lshl_or_b32 v7, s3, 8, v1
	s_delay_alu instid0(VALU_DEP_1) | instskip(NEXT) | instid1(VALU_DEP_1)
	v_lshlrev_b64 v[9:10], 2, v[7:8]
	v_add_co_u32 v9, s0, s68, v9
	s_delay_alu instid0(VALU_DEP_1) | instskip(SKIP_3) | instid1(VALU_DEP_1)
	v_add_co_ci_u32_e64 v10, s0, s69, v10, s0
	global_load_b32 v7, v[9:10], off glc
	s_waitcnt vmcnt(0)
	v_and_b32_e32 v2, -2.0, v7
	v_cmpx_eq_u32_e32 0, v2
	s_cbranch_execz .LBB25_284
; %bb.287:                              ;   in Loop: Header=BB25_285 Depth=1
	s_mov_b32 s8, 0
.LBB25_288:                             ;   Parent Loop BB25_285 Depth=1
                                        ; =>  This Inner Loop Header: Depth=2
	global_load_b32 v7, v[9:10], off glc
	s_waitcnt vmcnt(0)
	v_and_b32_e32 v2, -2.0, v7
	s_delay_alu instid0(VALU_DEP_1) | instskip(NEXT) | instid1(VALU_DEP_1)
	v_cmp_ne_u32_e64 s0, 0, v2
	s_or_b32 s8, s0, s8
	s_delay_alu instid0(SALU_CYCLE_1)
	s_and_not1_b32 exec_lo, exec_lo, s8
	s_cbranch_execnz .LBB25_288
	s_branch .LBB25_283
.LBB25_289:                             ;   in Loop: Header=BB25_285 Depth=1
                                        ; implicit-def: $sgpr3
	s_and_b32 s7, exec_lo, s0
	s_delay_alu instid0(SALU_CYCLE_1) | instskip(NEXT) | instid1(SALU_CYCLE_1)
	s_or_b32 s2, s7, s2
	s_and_not1_b32 exec_lo, exec_lo, s2
	s_cbranch_execnz .LBB25_285
.LBB25_290:
	s_or_b32 exec_lo, exec_lo, s2
	v_add_nc_u32_e32 v2, v0, v13
	v_lshlrev_b32_e32 v7, 3, v1
	v_sub_co_u32 v0, s0, v0, v3
	s_delay_alu instid0(VALU_DEP_3)
	v_or_b32_e32 v2, 0x80000000, v2
	global_store_b32 v[5:6], v2, off
	global_load_b64 v[5:6], v7, s[60:61]
	v_sub_co_ci_u32_e64 v2, s0, 0, v4, s0
	s_waitcnt vmcnt(0)
	v_add_co_u32 v5, s0, v0, v5
	s_delay_alu instid0(VALU_DEP_1)
	v_add_co_ci_u32_e64 v6, s0, v2, v6, s0
	v_mov_b32_e32 v2, 0
	ds_store_b64 v7, v[5:6]
.LBB25_291:
	s_or_b32 exec_lo, exec_lo, s1
	s_waitcnt lgkmcnt(0)
	s_waitcnt_vscnt null, 0x0
	s_barrier
	buffer_gl0_inv
	ds_load_2addr_stride64_b32 v[5:6], v76 offset0:16 offset1:24
	ds_load_2addr_stride64_b32 v[7:8], v76 offset0:32 offset1:40
	;; [unrolled: 1-line block ×3, first 2 shown]
	v_lshlrev_b32_e32 v0, 2, v1
	v_lshlrev_b64 v[52:53], 2, v[1:2]
	v_add_nc_u32_e32 v33, 0x1800, v76
	v_add_nc_u32_e32 v70, 0x1e00, v1
	v_add_nc_u32_e32 v74, 0x2200, v1
	ds_load_b32 v17, v0 offset:2048
	s_waitcnt lgkmcnt(3)
	v_lshrrev_b32_e32 v0, s64, v5
	s_waitcnt lgkmcnt(2)
	v_lshrrev_b32_e32 v21, s64, v7
	;; [unrolled: 2-line block ×3, first 2 shown]
	v_lshrrev_b32_e32 v41, s64, v6
	v_lshrrev_b32_e32 v47, s64, v8
	v_and_b32_e32 v0, s6, v0
	v_and_b32_e32 v21, s6, v21
	v_and_b32_e32 v25, s6, v25
	v_lshrrev_b32_e32 v48, s64, v10
	v_and_b32_e32 v41, s6, v41
	v_lshlrev_b32_e32 v37, 3, v0
	v_lshlrev_b32_e32 v29, 3, v21
	s_waitcnt lgkmcnt(0)
	v_lshrrev_b32_e32 v21, s64, v17
	v_lshlrev_b32_e32 v0, 3, v25
	ds_load_b64 v[43:44], v37
	ds_load_b64 v[45:46], v29
	;; [unrolled: 1-line block ×3, first 2 shown]
	v_and_b32_e32 v21, s6, v21
	v_xor_b32_e32 v62, 0x80000000, v7
	ds_load_2addr_stride64_b32 v[54:55], v76 offset0:64 offset1:72
	v_or_b32_e32 v25, 0x1000, v76
	v_xor_b32_e32 v17, 0x80000000, v17
	v_lshlrev_b32_e32 v49, 3, v21
	v_xor_b32_e32 v21, 0x80000000, v5
	v_and_b32_e32 v5, s6, v47
	v_and_b32_e32 v47, s6, v48
	v_lshlrev_b32_e32 v48, 3, v41
	ds_load_b64 v[56:57], v49
	v_xor_b32_e32 v41, 0x80000000, v6
	v_lshlrev_b32_e32 v6, 3, v5
	v_lshlrev_b32_e32 v5, 3, v47
	ds_load_b64 v[58:59], v48
	v_xor_b32_e32 v47, 0x80000000, v8
	s_waitcnt lgkmcnt(5)
	v_lshlrev_b64 v[7:8], 2, v[43:44]
	s_waitcnt lgkmcnt(4)
	v_lshlrev_b64 v[45:46], 2, v[45:46]
	ds_load_b64 v[43:44], v6
	ds_load_b64 v[60:61], v5
	v_add_co_u32 v63, s0, s54, v7
	s_delay_alu instid0(VALU_DEP_1) | instskip(SKIP_1) | instid1(VALU_DEP_1)
	v_add_co_ci_u32_e64 v64, s0, s55, v8, s0
	v_add_co_u32 v65, s0, s54, v45
	v_add_co_ci_u32_e64 v66, s0, s55, v46, s0
	s_waitcnt lgkmcnt(3)
	v_lshlrev_b64 v[7:8], 2, v[56:57]
	v_add_co_u32 v45, s0, v63, v52
	s_waitcnt lgkmcnt(2)
	v_lshlrev_b64 v[56:57], 2, v[58:59]
	v_add_co_ci_u32_e64 v46, s0, v64, v53, s0
	s_delay_alu instid0(VALU_DEP_4) | instskip(NEXT) | instid1(VALU_DEP_1)
	v_add_co_u32 v7, s0, s54, v7
	v_add_co_ci_u32_e64 v8, s0, s55, v8, s0
	s_delay_alu instid0(VALU_DEP_4) | instskip(NEXT) | instid1(VALU_DEP_1)
	v_add_co_u32 v56, s0, s54, v56
	;; [unrolled: 3-line block ×3, first 2 shown]
	v_add_co_ci_u32_e64 v8, s0, v8, v53, s0
	s_delay_alu instid0(VALU_DEP_4) | instskip(SKIP_4) | instid1(VALU_DEP_1)
	v_add_co_u32 v52, s0, v56, v25
	s_waitcnt lgkmcnt(1)
	v_lshlrev_b64 v[43:44], 2, v[43:44]
	v_add_co_ci_u32_e64 v53, s0, 0, v57, s0
	v_add_co_u32 v56, s0, v65, v33
	v_add_co_ci_u32_e64 v57, s0, 0, v66, s0
	s_clause 0x3
	global_store_b32 v[7:8], v17, off
	global_store_b32 v[45:46], v21, off offset:2048
	global_store_b32 v[52:53], v41, off
	global_store_b32 v[56:57], v62, off
	v_add_co_u32 v17, s0, s54, v43
	v_or_b32_e32 v25, 0x2000, v76
	v_add_co_ci_u32_e64 v21, s0, s55, v44, s0
	v_lshrrev_b32_e32 v33, s64, v54
	ds_load_2addr_stride64_b32 v[43:44], v76 offset0:80 offset1:88
	v_add_co_u32 v45, s0, v17, v25
	v_lshlrev_b64 v[7:8], 2, v[50:51]
	v_add_co_ci_u32_e64 v46, s0, 0, v21, s0
	v_and_b32_e32 v21, s6, v33
	v_xor_b32_e32 v17, 0x80000000, v9
	v_add_nc_u32_e32 v9, 0x2800, v76
	v_add_co_u32 v25, s0, s54, v7
	s_delay_alu instid0(VALU_DEP_4) | instskip(SKIP_2) | instid1(VALU_DEP_4)
	v_lshlrev_b32_e32 v7, 3, v21
	v_lshrrev_b32_e32 v21, s64, v55
	v_add_co_ci_u32_e64 v8, s0, s55, v8, s0
	v_add_co_u32 v50, s0, v25, v9
	ds_load_b64 v[52:53], v7
	v_and_b32_e32 v21, s6, v21
	v_add_co_ci_u32_e64 v51, s0, 0, v8, s0
	s_waitcnt lgkmcnt(2)
	v_lshlrev_b64 v[8:9], 2, v[60:61]
	s_waitcnt lgkmcnt(1)
	v_lshrrev_b32_e32 v25, s64, v43
	v_lshrrev_b32_e32 v33, s64, v44
	v_xor_b32_e32 v41, 0x80000000, v10
	v_lshlrev_b32_e32 v10, 3, v21
	v_or_b32_e32 v58, 0x3000, v76
	v_and_b32_e32 v21, s6, v25
	v_and_b32_e32 v25, s6, v33
	v_add_co_u32 v33, s0, s54, v8
	ds_load_b64 v[56:57], v10
	v_add_co_ci_u32_e64 v59, s0, s55, v9, s0
	v_lshlrev_b32_e32 v8, 3, v21
	v_add_co_u32 v58, s0, v33, v58
	v_lshlrev_b32_e32 v9, 3, v25
	s_delay_alu instid0(VALU_DEP_4)
	v_add_co_ci_u32_e64 v59, s0, 0, v59, s0
	ds_load_b64 v[60:61], v8
	ds_load_b64 v[62:63], v9
	s_waitcnt lgkmcnt(3)
	v_lshlrev_b64 v[52:53], 2, v[52:53]
	s_clause 0x2
	global_store_b32 v[45:46], v47, off
	global_store_b32 v[50:51], v17, off
	global_store_b32 v[58:59], v41, off
	ds_load_2addr_stride64_b32 v[50:51], v76 offset0:96 offset1:104
	v_add_nc_u32_e32 v41, 0x3800, v76
	v_or_b32_e32 v17, 0x1000, v1
	v_xor_b32_e32 v21, 0x80000000, v54
	v_add_co_u32 v25, s0, s54, v52
	s_delay_alu instid0(VALU_DEP_1) | instskip(SKIP_2) | instid1(VALU_DEP_3)
	v_add_co_ci_u32_e64 v33, s0, s55, v53, s0
	s_waitcnt lgkmcnt(3)
	v_lshlrev_b64 v[45:46], 2, v[56:57]
	v_add_co_u32 v52, s0, v25, v41
	s_delay_alu instid0(VALU_DEP_1) | instskip(SKIP_1) | instid1(VALU_DEP_4)
	v_add_co_ci_u32_e64 v53, s0, 0, v33, s0
	v_lshlrev_b32_e32 v25, 2, v17
	v_add_co_u32 v33, s0, s54, v45
	global_store_b32 v[52:53], v21, off
	ds_load_2addr_stride64_b32 v[52:53], v76 offset0:112 offset1:120
	v_add_co_ci_u32_e64 v41, s0, s55, v46, s0
	v_add_co_u32 v45, s0, v33, v25
	s_waitcnt lgkmcnt(1)
	v_lshrrev_b32_e32 v33, s64, v50
	v_xor_b32_e32 v47, 0x80000000, v55
	v_add_co_ci_u32_e64 v46, s0, 0, v41, s0
	v_lshlrev_b64 v[54:55], 2, v[60:61]
	s_delay_alu instid0(VALU_DEP_4)
	v_and_b32_e32 v33, s6, v33
	v_add_nc_u32_e32 v21, 0x1200, v1
	v_lshrrev_b32_e32 v56, s64, v51
	global_store_b32 v[45:46], v47, off
	v_xor_b32_e32 v64, 0x80000000, v43
	v_lshlrev_b32_e32 v45, 3, v33
	v_lshlrev_b32_e32 v25, 2, v21
	v_add_co_u32 v41, s0, s54, v54
	s_delay_alu instid0(VALU_DEP_1)
	v_add_co_ci_u32_e64 v43, s0, s55, v55, s0
	v_and_b32_e32 v33, s6, v56
	v_lshlrev_b64 v[54:55], 2, v[62:63]
	ds_load_b64 v[56:57], v45
	v_add_co_u32 v46, s0, v41, v25
	s_waitcnt lgkmcnt(1)
	v_lshrrev_b32_e32 v41, s64, v52
	v_add_co_ci_u32_e64 v47, s0, 0, v43, s0
	v_lshrrev_b32_e32 v43, s64, v53
	v_xor_b32_e32 v65, 0x80000000, v44
	v_lshlrev_b32_e32 v44, 3, v33
	v_or_b32_e32 v25, 0x1400, v1
	v_add_co_u32 v58, s0, s54, v54
	v_and_b32_e32 v33, s6, v41
	v_and_b32_e32 v43, s6, v43
	v_add_co_ci_u32_e64 v59, s0, s55, v55, s0
	ds_load_b64 v[54:55], v44
	v_lshlrev_b32_e32 v60, 2, v25
	v_lshlrev_b32_e32 v41, 3, v33
	;; [unrolled: 1-line block ×3, first 2 shown]
	s_waitcnt lgkmcnt(1)
	v_lshlrev_b64 v[56:57], 2, v[56:57]
	v_add_nc_u32_e32 v43, 0x1600, v1
	v_add_co_u32 v58, s0, v58, v60
	s_delay_alu instid0(VALU_DEP_1)
	v_add_co_ci_u32_e64 v59, s0, 0, v59, s0
	ds_load_b64 v[60:61], v41
	ds_load_b64 v[62:63], v33
	s_clause 0x1
	global_store_b32 v[46:47], v64, off
	global_store_b32 v[58:59], v65, off
	ds_load_2addr_stride64_b32 v[58:59], v76 offset0:128 offset1:136
	v_xor_b32_e32 v64, 0x80000000, v50
	v_lshlrev_b32_e32 v47, 2, v43
	v_add_co_u32 v50, s0, s54, v56
	s_delay_alu instid0(VALU_DEP_1) | instskip(SKIP_4) | instid1(VALU_DEP_1)
	v_add_co_ci_u32_e64 v57, s0, s55, v57, s0
	s_waitcnt lgkmcnt(3)
	v_lshlrev_b64 v[54:55], 2, v[54:55]
	v_or_b32_e32 v46, 0x1800, v1
	v_add_co_u32 v56, s0, v50, v47
	v_add_co_ci_u32_e64 v57, s0, 0, v57, s0
	s_delay_alu instid0(VALU_DEP_3)
	v_lshlrev_b32_e32 v66, 2, v46
	v_add_co_u32 v54, s0, s54, v54
	v_xor_b32_e32 v65, 0x80000000, v51
	v_add_co_ci_u32_e64 v55, s0, s55, v55, s0
	s_waitcnt lgkmcnt(2)
	v_lshlrev_b64 v[50:51], 2, v[60:61]
	v_add_nc_u32_e32 v47, 0x1a00, v1
	v_add_co_u32 v54, s0, v54, v66
	ds_load_2addr_stride64_b32 v[60:61], v76 offset0:144 offset1:152
	v_add_co_ci_u32_e64 v55, s0, 0, v55, s0
	v_lshlrev_b32_e32 v66, 2, v47
	v_add_co_u32 v50, s0, s54, v50
	s_waitcnt lgkmcnt(1)
	v_lshrrev_b32_e32 v67, s64, v58
	v_add_co_ci_u32_e64 v51, s0, s55, v51, s0
	s_delay_alu instid0(VALU_DEP_3) | instskip(NEXT) | instid1(VALU_DEP_3)
	v_add_co_u32 v50, s0, v50, v66
	v_and_b32_e32 v66, s6, v67
	v_xor_b32_e32 v52, 0x80000000, v52
	v_lshrrev_b32_e32 v68, s64, v59
	v_add_co_ci_u32_e64 v51, s0, 0, v51, s0
	s_clause 0x1
	global_store_b32 v[56:57], v64, off
	global_store_b32 v[54:55], v65, off
	v_lshlrev_b32_e32 v64, 3, v66
	v_and_b32_e32 v54, s6, v68
	global_store_b32 v[50:51], v52, off
	v_xor_b32_e32 v66, 0x80000000, v53
	v_lshlrev_b64 v[52:53], 2, v[62:63]
	ds_load_b64 v[50:51], v64
	v_or_b32_e32 v65, 0x1c00, v1
	s_waitcnt lgkmcnt(1)
	v_lshrrev_b32_e32 v56, s64, v60
	v_lshrrev_b32_e32 v57, s64, v61
	v_lshlrev_b32_e32 v67, 3, v54
	v_add_co_u32 v52, s0, s54, v52
	v_lshlrev_b32_e32 v62, 2, v65
	v_and_b32_e32 v56, s6, v56
	ds_load_b64 v[54:55], v67
	v_add_co_ci_u32_e64 v53, s0, s55, v53, s0
	v_and_b32_e32 v57, s6, v57
	v_add_co_u32 v52, s0, v52, v62
	v_lshlrev_b32_e32 v68, 3, v56
	s_delay_alu instid0(VALU_DEP_4) | instskip(NEXT) | instid1(VALU_DEP_4)
	v_add_co_ci_u32_e64 v53, s0, 0, v53, s0
	v_lshlrev_b32_e32 v69, 3, v57
	ds_load_b64 v[56:57], v68
	ds_load_b64 v[62:63], v69
	global_store_b32 v[52:53], v66, off
	ds_load_2addr_stride64_b32 v[52:53], v76 offset0:160 offset1:168
	s_waitcnt lgkmcnt(4)
	v_lshlrev_b64 v[50:51], 2, v[50:51]
	v_xor_b32_e32 v66, 0x80000000, v58
	v_lshlrev_b32_e32 v58, 2, v70
	ds_load_b32 v76, v76 offset:45056
	v_xor_b32_e32 v60, 0x80000000, v60
	v_xor_b32_e32 v61, 0x80000000, v61
	v_add_co_u32 v71, s0, s54, v50
	s_delay_alu instid0(VALU_DEP_1) | instskip(SKIP_2) | instid1(VALU_DEP_3)
	v_add_co_ci_u32_e64 v72, s0, s55, v51, s0
	s_waitcnt lgkmcnt(4)
	v_lshlrev_b64 v[50:51], 2, v[54:55]
	v_add_co_u32 v54, s0, v71, v58
	v_or_b32_e32 v71, 0x2000, v1
	v_add_co_ci_u32_e64 v55, s0, 0, v72, s0
	s_delay_alu instid0(VALU_DEP_4) | instskip(NEXT) | instid1(VALU_DEP_3)
	v_add_co_u32 v58, s0, s54, v50
	v_lshlrev_b32_e32 v73, 2, v71
	v_xor_b32_e32 v72, 0x80000000, v59
	v_add_co_ci_u32_e64 v59, s0, s55, v51, s0
	s_waitcnt lgkmcnt(1)
	v_lshrrev_b32_e32 v75, s64, v52
	v_lshlrev_b64 v[50:51], 2, v[56:57]
	v_add_co_u32 v56, s0, v58, v73
	s_delay_alu instid0(VALU_DEP_1) | instskip(NEXT) | instid1(VALU_DEP_4)
	v_add_co_ci_u32_e64 v57, s0, 0, v59, s0
	v_and_b32_e32 v59, s6, v75
	v_lshlrev_b32_e32 v58, 2, v74
	v_add_co_u32 v50, s0, s54, v50
	v_lshrrev_b32_e32 v75, s64, v53
	v_add_co_ci_u32_e64 v51, s0, s55, v51, s0
	v_lshlrev_b32_e32 v73, 3, v59
	s_delay_alu instid0(VALU_DEP_4) | instskip(NEXT) | instid1(VALU_DEP_4)
	v_add_co_u32 v50, s0, v50, v58
	v_and_b32_e32 v75, s6, v75
	s_delay_alu instid0(VALU_DEP_4)
	v_add_co_ci_u32_e64 v51, s0, 0, v51, s0
	ds_load_b64 v[58:59], v73
	s_waitcnt lgkmcnt(1)
	v_lshrrev_b32_e32 v77, s64, v76
	s_clause 0x2
	global_store_b32 v[54:55], v66, off
	global_store_b32 v[56:57], v72, off
	;; [unrolled: 1-line block ×3, first 2 shown]
	v_lshlrev_b32_e32 v60, 3, v75
	v_lshlrev_b64 v[50:51], 2, v[62:63]
	v_or_b32_e32 v62, 0x2400, v1
	v_and_b32_e32 v56, s6, v77
	v_add_nc_u32_e32 v77, 0x2600, v1
	ds_load_b64 v[54:55], v60
	v_add_co_u32 v66, s0, s54, v50
	v_lshlrev_b32_e32 v63, 3, v56
	v_add_co_ci_u32_e64 v72, s0, s55, v51, s0
	v_lshlrev_b32_e32 v75, 2, v62
	ds_load_b64 v[50:51], v63
	s_waitcnt lgkmcnt(2)
	v_lshlrev_b64 v[56:57], 2, v[58:59]
	v_add_co_u32 v58, s0, v66, v75
	s_delay_alu instid0(VALU_DEP_1) | instskip(SKIP_3) | instid1(VALU_DEP_1)
	v_add_co_ci_u32_e64 v59, s0, 0, v72, s0
	v_xor_b32_e32 v66, 0x80000000, v52
	v_lshlrev_b32_e32 v52, 2, v77
	v_add_co_u32 v56, s0, s54, v56
	v_add_co_ci_u32_e64 v57, s0, s55, v57, s0
	s_waitcnt lgkmcnt(1)
	v_lshlrev_b64 v[54:55], 2, v[54:55]
	v_or_b32_e32 v72, 0x2800, v1
	v_add_co_u32 v56, s0, v56, v52
	s_delay_alu instid0(VALU_DEP_1) | instskip(SKIP_1) | instid1(VALU_DEP_4)
	v_add_co_ci_u32_e64 v57, s0, 0, v57, s0
	v_xor_b32_e32 v75, 0x80000000, v53
	v_lshlrev_b32_e32 v52, 2, v72
	v_add_co_u32 v53, s0, s54, v54
	s_delay_alu instid0(VALU_DEP_1) | instskip(SKIP_2) | instid1(VALU_DEP_3)
	v_add_co_ci_u32_e64 v54, s0, s55, v55, s0
	s_waitcnt lgkmcnt(0)
	v_lshlrev_b64 v[50:51], 2, v[50:51]
	v_add_co_u32 v52, s0, v53, v52
	s_delay_alu instid0(VALU_DEP_1) | instskip(SKIP_1) | instid1(VALU_DEP_4)
	v_add_co_ci_u32_e64 v53, s0, 0, v54, s0
	v_add_nc_u32_e32 v54, 0x2a00, v1
	v_add_co_u32 v50, s0, s54, v50
	v_xor_b32_e32 v55, 0x80000000, v76
	v_add_co_ci_u32_e64 v51, s0, s55, v51, s0
	s_delay_alu instid0(VALU_DEP_4) | instskip(SKIP_3) | instid1(VALU_DEP_1)
	v_lshlrev_b32_e32 v76, 2, v54
	s_add_u32 s0, s56, s50
	s_addc_u32 s1, s57, 0
	v_add_co_u32 v11, s0, s0, v11
	v_add_co_ci_u32_e64 v78, null, s1, 0, s0
	v_add_co_u32 v50, s0, v50, v76
	s_delay_alu instid0(VALU_DEP_1) | instskip(NEXT) | instid1(VALU_DEP_4)
	v_add_co_ci_u32_e64 v51, s0, 0, v51, s0
	v_add_co_u32 v11, s0, v11, v12
	s_delay_alu instid0(VALU_DEP_1)
	v_add_co_ci_u32_e64 v12, s0, 0, v78, s0
	s_clause 0x3
	global_store_b32 v[58:59], v61, off
	global_store_b32 v[56:57], v66, off
	global_store_b32 v[52:53], v75, off
	global_store_b32 v[50:51], v55, off
	s_clause 0x15
	global_load_u8 v50, v[11:12], off
	global_load_u8 v51, v[11:12], off offset:32
	global_load_u8 v52, v[11:12], off offset:64
	;; [unrolled: 1-line block ×21, first 2 shown]
	s_waitcnt vmcnt(0)
	s_waitcnt_vscnt null, 0x0
	s_barrier
	buffer_gl0_inv
	s_add_i32 s5, s5, -1
	ds_store_b8 v14, v50 offset:2048
	ds_store_b8 v15, v51 offset:2048
	;; [unrolled: 1-line block ×22, first 2 shown]
	s_waitcnt lgkmcnt(0)
	s_barrier
	buffer_gl0_inv
	ds_load_b64 v[11:12], v49
	ds_load_u8 v16, v1 offset:2048
	ds_load_b64 v[14:15], v37
	ds_load_b64 v[18:19], v48
	;; [unrolled: 1-line block ×3, first 2 shown]
	ds_load_u8 v20, v1 offset:2560
	ds_load_b64 v[26:27], v60
	ds_load_b64 v[28:29], v63
	s_cmp_eq_u32 s15, s5
	s_waitcnt lgkmcnt(7)
	v_add_co_u32 v11, s0, s58, v11
	s_delay_alu instid0(VALU_DEP_1) | instskip(NEXT) | instid1(VALU_DEP_2)
	v_add_co_ci_u32_e64 v12, s0, s59, v12, s0
	v_add_co_u32 v11, s0, v11, v1
	s_delay_alu instid0(VALU_DEP_1)
	v_add_co_ci_u32_e64 v12, s0, v12, v2, s0
	s_waitcnt lgkmcnt(6)
	global_store_b8 v[11:12], v16, off
	s_waitcnt lgkmcnt(5)
	v_add_co_u32 v11, s0, s58, v14
	ds_load_u8 v16, v1 offset:3072
	v_add_co_ci_u32_e64 v12, s0, s59, v15, s0
	v_add_co_u32 v11, s0, v11, v1
	s_delay_alu instid0(VALU_DEP_1) | instskip(SKIP_2) | instid1(VALU_DEP_1)
	v_add_co_ci_u32_e64 v12, s0, v12, v2, s0
	s_waitcnt lgkmcnt(5)
	v_add_co_u32 v14, s0, s58, v18
	v_add_co_ci_u32_e64 v15, s0, s59, v19, s0
	s_waitcnt lgkmcnt(3)
	global_store_b8 v[11:12], v20, off offset:512
	v_add_co_u32 v11, s0, v14, v1
	s_delay_alu instid0(VALU_DEP_1)
	v_add_co_ci_u32_e64 v12, s0, v15, v2, s0
	ds_load_b64 v[14:15], v6
	ds_load_u8 v20, v1 offset:3584
	ds_load_u8 v24, v1 offset:4096
	ds_load_u8 v32, v1 offset:4608
	ds_load_u8 v34, v1 offset:5120
	ds_load_u8 v35, v1 offset:5632
	ds_load_u8 v36, v1 offset:6144
	ds_load_u8 v37, v1 offset:6656
	ds_load_b64 v[5:6], v5
	s_waitcnt lgkmcnt(9)
	global_store_b8 v[11:12], v16, off offset:1024
	ds_load_b64 v[11:12], v0
	v_add_co_u32 v0, s0, s58, v22
	s_delay_alu instid0(VALU_DEP_1) | instskip(SKIP_2) | instid1(VALU_DEP_1)
	v_add_co_ci_u32_e64 v16, s0, s59, v23, s0
	ds_load_b64 v[22:23], v7
	v_add_co_u32 v18, s0, v0, v1
	v_add_co_ci_u32_e64 v19, s0, v16, v2, s0
	s_waitcnt lgkmcnt(10)
	v_add_co_u32 v0, s0, s58, v14
	s_delay_alu instid0(VALU_DEP_1) | instskip(SKIP_3) | instid1(VALU_DEP_1)
	v_add_co_ci_u32_e64 v7, s0, s59, v15, s0
	s_waitcnt lgkmcnt(9)
	global_store_b8 v[18:19], v20, off offset:1536
	v_add_co_u32 v14, s0, v0, v1
	v_add_co_ci_u32_e64 v15, s0, v7, v2, s0
	s_waitcnt lgkmcnt(1)
	v_add_co_u32 v0, s0, s58, v11
	s_delay_alu instid0(VALU_DEP_1) | instskip(SKIP_2) | instid1(VALU_DEP_1)
	v_add_co_ci_u32_e64 v7, s0, s59, v12, s0
	ds_load_b64 v[10:11], v10
	v_add_co_u32 v12, s0, s58, v5
	v_add_co_ci_u32_e64 v16, s0, s59, v6, s0
	v_add_co_u32 v5, s0, v0, v1
	s_delay_alu instid0(VALU_DEP_1) | instskip(NEXT) | instid1(VALU_DEP_4)
	v_add_co_ci_u32_e64 v6, s0, v7, v2, s0
	v_add_co_u32 v18, s0, v12, v1
	s_delay_alu instid0(VALU_DEP_1) | instskip(SKIP_2) | instid1(VALU_DEP_1)
	v_add_co_ci_u32_e64 v19, s0, v16, v2, s0
	s_waitcnt lgkmcnt(1)
	v_add_co_u32 v0, s0, s58, v22
	v_add_co_ci_u32_e64 v12, s0, s59, v23, s0
	ds_load_b64 v[7:8], v8
	ds_load_b64 v[22:23], v9
	;; [unrolled: 1-line block ×3, first 2 shown]
	s_waitcnt lgkmcnt(3)
	v_add_co_u32 v16, s0, s58, v10
	s_delay_alu instid0(VALU_DEP_1) | instskip(SKIP_1) | instid1(VALU_DEP_1)
	v_add_co_ci_u32_e64 v20, s0, s59, v11, s0
	v_add_co_u32 v9, s0, v0, v1
	v_add_co_ci_u32_e64 v10, s0, v12, v2, s0
	s_delay_alu instid0(VALU_DEP_4) | instskip(NEXT) | instid1(VALU_DEP_1)
	v_add_co_u32 v11, s0, v16, v17
	v_add_co_ci_u32_e64 v12, s0, 0, v20, s0
	s_clause 0x4
	global_store_b8 v[14:15], v24, off offset:2048
	global_store_b8 v[5:6], v32, off offset:2560
	;; [unrolled: 1-line block ×4, first 2 shown]
	global_store_b8 v[11:12], v36, off
	ds_load_u8 v9, v1 offset:7168
	s_waitcnt lgkmcnt(3)
	v_add_co_u32 v0, s0, s58, v7
	s_delay_alu instid0(VALU_DEP_1) | instskip(NEXT) | instid1(VALU_DEP_2)
	v_add_co_ci_u32_e64 v6, s0, s59, v8, s0
	v_add_co_u32 v5, s0, v0, v21
	s_delay_alu instid0(VALU_DEP_1) | instskip(SKIP_2) | instid1(VALU_DEP_1)
	v_add_co_ci_u32_e64 v6, s0, 0, v6, s0
	s_waitcnt lgkmcnt(2)
	v_add_co_u32 v0, s0, s58, v22
	v_add_co_ci_u32_e64 v7, s0, s59, v23, s0
	global_store_b8 v[5:6], v37, off
	v_add_co_u32 v5, s0, v0, v25
	s_delay_alu instid0(VALU_DEP_1)
	v_add_co_ci_u32_e64 v6, s0, 0, v7, s0
	ds_load_b64 v[7:8], v44
	ds_load_u8 v0, v1 offset:7680
	ds_load_u8 v22, v1 offset:8192
	;; [unrolled: 1-line block ×7, first 2 shown]
	s_waitcnt lgkmcnt(9)
	v_add_co_u32 v11, s0, s58, v30
	s_waitcnt lgkmcnt(8)
	global_store_b8 v[5:6], v9, off
	ds_load_b64 v[5:6], v41
	ds_load_b64 v[14:15], v64
	v_add_co_ci_u32_e64 v12, s0, s59, v31, s0
	ds_load_b64 v[9:10], v33
	v_add_co_u32 v11, s0, v11, v43
	s_delay_alu instid0(VALU_DEP_1) | instskip(SKIP_2) | instid1(VALU_DEP_1)
	v_add_co_ci_u32_e64 v12, s0, 0, v12, s0
	s_waitcnt lgkmcnt(10)
	v_add_co_u32 v7, s0, s58, v7
	v_add_co_ci_u32_e64 v8, s0, s59, v8, s0
	s_waitcnt lgkmcnt(9)
	global_store_b8 v[11:12], v0, off
	v_add_co_u32 v7, s0, v7, v46
	s_delay_alu instid0(VALU_DEP_1) | instskip(SKIP_2) | instid1(VALU_DEP_1)
	v_add_co_ci_u32_e64 v8, s0, 0, v8, s0
	s_waitcnt lgkmcnt(2)
	v_add_co_u32 v0, s0, s58, v5
	v_add_co_ci_u32_e64 v11, s0, s59, v6, s0
	ds_load_b64 v[5:6], v67
	s_waitcnt lgkmcnt(1)
	v_add_co_u32 v12, s0, s58, v9
	s_delay_alu instid0(VALU_DEP_1) | instskip(SKIP_1) | instid1(VALU_DEP_1)
	v_add_co_ci_u32_e64 v16, s0, s59, v10, s0
	v_add_co_u32 v9, s0, v0, v47
	v_add_co_ci_u32_e64 v10, s0, 0, v11, s0
	s_delay_alu instid0(VALU_DEP_4) | instskip(NEXT) | instid1(VALU_DEP_1)
	v_add_co_u32 v11, s0, v12, v65
	v_add_co_ci_u32_e64 v12, s0, 0, v16, s0
	v_add_co_u32 v0, s0, s58, v14
	s_delay_alu instid0(VALU_DEP_1)
	v_add_co_ci_u32_e64 v20, s0, s59, v15, s0
	ds_load_b64 v[14:15], v68
	ds_load_b64 v[16:17], v69
	;; [unrolled: 1-line block ×3, first 2 shown]
	s_waitcnt lgkmcnt(3)
	v_add_co_u32 v21, s0, s58, v5
	s_delay_alu instid0(VALU_DEP_1) | instskip(SKIP_1) | instid1(VALU_DEP_1)
	v_add_co_ci_u32_e64 v30, s0, s59, v6, s0
	v_add_co_u32 v5, s0, v0, v70
	v_add_co_ci_u32_e64 v6, s0, 0, v20, s0
	s_delay_alu instid0(VALU_DEP_4) | instskip(NEXT) | instid1(VALU_DEP_1)
	v_add_co_u32 v20, s0, v21, v71
	v_add_co_ci_u32_e64 v21, s0, 0, v30, s0
	s_clause 0x4
	global_store_b8 v[7:8], v22, off
	global_store_b8 v[9:10], v23, off
	;; [unrolled: 1-line block ×5, first 2 shown]
	ds_load_u8 v0, v1 offset:11264
	s_waitcnt lgkmcnt(3)
	v_add_co_u32 v5, s0, s58, v14
	s_delay_alu instid0(VALU_DEP_1) | instskip(SKIP_2) | instid1(VALU_DEP_1)
	v_add_co_ci_u32_e64 v6, s0, s59, v15, s0
	s_waitcnt lgkmcnt(2)
	v_add_co_u32 v7, s0, s58, v16
	v_add_co_ci_u32_e64 v8, s0, s59, v17, s0
	v_add_co_u32 v5, s0, v5, v74
	s_delay_alu instid0(VALU_DEP_1) | instskip(NEXT) | instid1(VALU_DEP_4)
	v_add_co_ci_u32_e64 v6, s0, 0, v6, s0
	v_add_co_u32 v7, s0, v7, v62
	s_delay_alu instid0(VALU_DEP_1)
	v_add_co_ci_u32_e64 v8, s0, 0, v8, s0
	global_store_b8 v[5:6], v34, off
	ds_load_u8 v11, v1 offset:11776
	ds_load_u8 v12, v1 offset:12288
	;; [unrolled: 1-line block ×3, first 2 shown]
	s_waitcnt lgkmcnt(3)
	global_store_b8 v[7:8], v0, off
	v_add_co_u32 v0, s0, s58, v18
	s_delay_alu instid0(VALU_DEP_1) | instskip(SKIP_1) | instid1(VALU_DEP_1)
	v_add_co_ci_u32_e64 v6, s0, s59, v19, s0
	v_add_co_u32 v7, s0, s58, v26
	v_add_co_ci_u32_e64 v8, s0, s59, v27, s0
	s_delay_alu instid0(VALU_DEP_4) | instskip(NEXT) | instid1(VALU_DEP_1)
	v_add_co_u32 v5, s0, v0, v77
	v_add_co_ci_u32_e64 v6, s0, 0, v6, s0
	s_delay_alu instid0(VALU_DEP_4) | instskip(NEXT) | instid1(VALU_DEP_1)
	v_add_co_u32 v7, s0, v7, v72
	v_add_co_ci_u32_e64 v8, s0, 0, v8, s0
	v_add_co_u32 v0, s0, s58, v28
	s_delay_alu instid0(VALU_DEP_1) | instskip(SKIP_3) | instid1(VALU_DEP_1)
	v_add_co_ci_u32_e64 v10, s0, s59, v29, s0
	s_waitcnt lgkmcnt(2)
	global_store_b8 v[5:6], v11, off
	v_add_co_u32 v9, s0, v0, v54
	v_add_co_ci_u32_e64 v10, s0, 0, v10, s0
	s_cselect_b32 s0, -1, 0
	s_waitcnt lgkmcnt(1)
	global_store_b8 v[7:8], v12, off
	s_and_b32 s1, vcc_lo, s0
	s_waitcnt lgkmcnt(0)
	global_store_b8 v[9:10], v14, off
                                        ; implicit-def: $vgpr5_vgpr6
	s_and_saveexec_b32 s0, s1
; %bb.292:
	v_add_co_u32 v5, vcc_lo, v3, v13
	v_add_co_ci_u32_e32 v6, vcc_lo, 0, v4, vcc_lo
	s_or_b32 s4, s4, exec_lo
; %bb.293:
	s_or_b32 exec_lo, exec_lo, s0
.LBB25_294:
	s_and_saveexec_b32 s0, s4
	s_cbranch_execnz .LBB25_296
; %bb.295:
	s_nop 0
	s_sendmsg sendmsg(MSG_DEALLOC_VGPRS)
	s_endpgm
.LBB25_296:
	v_lshlrev_b32_e32 v0, 3, v1
	ds_load_b64 v[3:4], v0
	v_lshlrev_b64 v[0:1], 3, v[1:2]
	s_delay_alu instid0(VALU_DEP_1) | instskip(NEXT) | instid1(VALU_DEP_2)
	v_add_co_u32 v0, vcc_lo, s62, v0
	v_add_co_ci_u32_e32 v1, vcc_lo, s63, v1, vcc_lo
	s_waitcnt lgkmcnt(0)
	v_add_co_u32 v2, vcc_lo, v3, v5
	v_add_co_ci_u32_e32 v3, vcc_lo, v4, v6, vcc_lo
	global_store_b64 v[0:1], v[2:3], off
	s_nop 0
	s_sendmsg sendmsg(MSG_DEALLOC_VGPRS)
	s_endpgm
.LBB25_297:
	global_load_u8 v10, v[2:3], off
	s_or_b32 exec_lo, exec_lo, s48
                                        ; implicit-def: $vgpr45
	s_and_saveexec_b32 s48, s2
	s_cbranch_execz .LBB25_155
.LBB25_298:
	global_load_u8 v45, v[2:3], off offset:32
	s_or_b32 exec_lo, exec_lo, s48
                                        ; implicit-def: $vgpr46
	s_and_saveexec_b32 s2, s3
	s_cbranch_execz .LBB25_156
.LBB25_299:
	global_load_u8 v46, v[2:3], off offset:64
	s_or_b32 exec_lo, exec_lo, s2
                                        ; implicit-def: $vgpr47
	s_and_saveexec_b32 s2, s4
	s_cbranch_execz .LBB25_157
.LBB25_300:
	global_load_u8 v47, v[2:3], off offset:96
	s_or_b32 exec_lo, exec_lo, s2
                                        ; implicit-def: $vgpr48
	s_and_saveexec_b32 s2, s5
	s_cbranch_execz .LBB25_158
.LBB25_301:
	global_load_u8 v48, v[2:3], off offset:128
	s_or_b32 exec_lo, exec_lo, s2
                                        ; implicit-def: $vgpr49
	s_and_saveexec_b32 s2, s6
	s_cbranch_execz .LBB25_159
.LBB25_302:
	global_load_u8 v49, v[2:3], off offset:160
	s_or_b32 exec_lo, exec_lo, s2
                                        ; implicit-def: $vgpr50
	s_and_saveexec_b32 s2, s7
	s_cbranch_execz .LBB25_160
.LBB25_303:
	global_load_u8 v50, v[2:3], off offset:192
	s_or_b32 exec_lo, exec_lo, s2
                                        ; implicit-def: $vgpr51
	s_and_saveexec_b32 s2, s8
	s_cbranch_execz .LBB25_161
.LBB25_304:
	global_load_u8 v51, v[2:3], off offset:224
	s_or_b32 exec_lo, exec_lo, s2
                                        ; implicit-def: $vgpr52
	s_and_saveexec_b32 s2, s9
	s_cbranch_execz .LBB25_162
.LBB25_305:
	global_load_u8 v52, v[2:3], off offset:256
	s_or_b32 exec_lo, exec_lo, s2
                                        ; implicit-def: $vgpr53
	s_and_saveexec_b32 s2, s10
	s_cbranch_execz .LBB25_163
.LBB25_306:
	global_load_u8 v53, v[2:3], off offset:288
	s_or_b32 exec_lo, exec_lo, s2
                                        ; implicit-def: $vgpr54
	s_and_saveexec_b32 s2, s11
	s_cbranch_execz .LBB25_164
.LBB25_307:
	global_load_u8 v54, v[2:3], off offset:320
	s_or_b32 exec_lo, exec_lo, s2
                                        ; implicit-def: $vgpr55
	s_and_saveexec_b32 s2, s12
	s_cbranch_execz .LBB25_165
.LBB25_308:
	global_load_u8 v55, v[2:3], off offset:352
	s_or_b32 exec_lo, exec_lo, s2
                                        ; implicit-def: $vgpr56
	s_and_saveexec_b32 s2, s13
	s_cbranch_execz .LBB25_166
.LBB25_309:
	global_load_u8 v56, v[2:3], off offset:384
	s_or_b32 exec_lo, exec_lo, s2
                                        ; implicit-def: $vgpr58
	s_and_saveexec_b32 s2, s14
	s_cbranch_execz .LBB25_167
.LBB25_310:
	global_load_u8 v58, v[2:3], off offset:416
	s_or_b32 exec_lo, exec_lo, s2
                                        ; implicit-def: $vgpr61
	s_and_saveexec_b32 s2, s16
	s_cbranch_execz .LBB25_168
.LBB25_311:
	global_load_u8 v61, v[2:3], off offset:448
	s_or_b32 exec_lo, exec_lo, s2
                                        ; implicit-def: $vgpr65
	s_and_saveexec_b32 s2, s17
	s_cbranch_execz .LBB25_169
.LBB25_312:
	global_load_u8 v65, v[2:3], off offset:480
	s_or_b32 exec_lo, exec_lo, s2
                                        ; implicit-def: $vgpr68
	s_and_saveexec_b32 s2, s18
	s_cbranch_execz .LBB25_170
.LBB25_313:
	global_load_u8 v68, v[2:3], off offset:512
	s_or_b32 exec_lo, exec_lo, s2
                                        ; implicit-def: $vgpr71
	s_and_saveexec_b32 s2, s19
	s_cbranch_execz .LBB25_171
.LBB25_314:
	global_load_u8 v71, v[2:3], off offset:544
	s_or_b32 exec_lo, exec_lo, s2
                                        ; implicit-def: $vgpr74
	s_and_saveexec_b32 s2, s20
	s_cbranch_execz .LBB25_172
.LBB25_315:
	global_load_u8 v74, v[2:3], off offset:576
	s_or_b32 exec_lo, exec_lo, s2
                                        ; implicit-def: $vgpr77
	s_and_saveexec_b32 s2, s21
	s_cbranch_execz .LBB25_173
.LBB25_316:
	global_load_u8 v77, v[2:3], off offset:608
	s_or_b32 exec_lo, exec_lo, s2
                                        ; implicit-def: $vgpr81
	s_and_saveexec_b32 s2, s22
	s_cbranch_execz .LBB25_174
.LBB25_317:
	global_load_u8 v81, v[2:3], off offset:640
	s_or_b32 exec_lo, exec_lo, s2
                                        ; implicit-def: $vgpr84
	s_and_saveexec_b32 s2, s23
	s_cbranch_execz .LBB25_175
.LBB25_318:
	global_load_u8 v84, v[2:3], off offset:672
	s_or_b32 exec_lo, exec_lo, s2
                                        ; implicit-def: $vgpr85
	s_and_saveexec_b32 s2, s25
	s_cbranch_execz .LBB25_176
.LBB25_319:
	ds_load_b32 v2, v12 offset:2048
	s_waitcnt lgkmcnt(0)
	v_lshrrev_b32_e32 v2, s64, v2
	s_delay_alu instid0(VALU_DEP_1)
	v_and_b32_e32 v85, s51, v2
	s_or_b32 exec_lo, exec_lo, s2
                                        ; implicit-def: $vgpr83
	s_and_saveexec_b32 s2, s26
	s_cbranch_execz .LBB25_177
.LBB25_320:
	ds_load_b32 v2, v12 offset:4096
	s_waitcnt lgkmcnt(0)
	v_lshrrev_b32_e32 v2, s64, v2
	s_delay_alu instid0(VALU_DEP_1)
	v_and_b32_e32 v83, s51, v2
	s_or_b32 exec_lo, exec_lo, s2
                                        ; implicit-def: $vgpr82
	s_and_saveexec_b32 s2, s27
	s_cbranch_execz .LBB25_178
.LBB25_321:
	ds_load_b32 v2, v12 offset:6144
	s_waitcnt lgkmcnt(0)
	v_lshrrev_b32_e32 v2, s64, v2
	s_delay_alu instid0(VALU_DEP_1)
	v_and_b32_e32 v82, s51, v2
	s_or_b32 exec_lo, exec_lo, s2
                                        ; implicit-def: $vgpr80
	s_and_saveexec_b32 s2, s28
	s_cbranch_execz .LBB25_179
.LBB25_322:
	ds_load_b32 v2, v12 offset:8192
	s_waitcnt lgkmcnt(0)
	v_lshrrev_b32_e32 v2, s64, v2
	s_delay_alu instid0(VALU_DEP_1)
	v_and_b32_e32 v80, s51, v2
	s_or_b32 exec_lo, exec_lo, s2
                                        ; implicit-def: $vgpr79
	s_and_saveexec_b32 s2, s29
	s_cbranch_execz .LBB25_180
.LBB25_323:
	ds_load_b32 v2, v12 offset:10240
	s_waitcnt lgkmcnt(0)
	v_lshrrev_b32_e32 v2, s64, v2
	s_delay_alu instid0(VALU_DEP_1)
	v_and_b32_e32 v79, s51, v2
	s_or_b32 exec_lo, exec_lo, s2
                                        ; implicit-def: $vgpr78
	s_and_saveexec_b32 s2, s30
	s_cbranch_execz .LBB25_181
.LBB25_324:
	ds_load_b32 v2, v12 offset:12288
	s_waitcnt lgkmcnt(0)
	v_lshrrev_b32_e32 v2, s64, v2
	s_delay_alu instid0(VALU_DEP_1)
	v_and_b32_e32 v78, s51, v2
	s_or_b32 exec_lo, exec_lo, s2
                                        ; implicit-def: $vgpr76
	s_and_saveexec_b32 s2, s31
	s_cbranch_execz .LBB25_182
.LBB25_325:
	ds_load_b32 v2, v12 offset:14336
	s_waitcnt lgkmcnt(0)
	v_lshrrev_b32_e32 v2, s64, v2
	s_delay_alu instid0(VALU_DEP_1)
	v_and_b32_e32 v76, s51, v2
	s_or_b32 exec_lo, exec_lo, s2
                                        ; implicit-def: $vgpr75
	s_and_saveexec_b32 s2, s33
	s_cbranch_execz .LBB25_183
.LBB25_326:
	ds_load_b32 v2, v12 offset:16384
	s_waitcnt lgkmcnt(0)
	v_lshrrev_b32_e32 v2, s64, v2
	s_delay_alu instid0(VALU_DEP_1)
	v_and_b32_e32 v75, s51, v2
	s_or_b32 exec_lo, exec_lo, s2
                                        ; implicit-def: $vgpr73
	s_and_saveexec_b32 s2, s34
	s_cbranch_execz .LBB25_184
.LBB25_327:
	ds_load_b32 v2, v12 offset:18432
	s_waitcnt lgkmcnt(0)
	v_lshrrev_b32_e32 v2, s64, v2
	s_delay_alu instid0(VALU_DEP_1)
	v_and_b32_e32 v73, s51, v2
	s_or_b32 exec_lo, exec_lo, s2
                                        ; implicit-def: $vgpr72
	s_and_saveexec_b32 s2, s35
	s_cbranch_execz .LBB25_185
.LBB25_328:
	ds_load_b32 v2, v12 offset:20480
	s_waitcnt lgkmcnt(0)
	v_lshrrev_b32_e32 v2, s64, v2
	s_delay_alu instid0(VALU_DEP_1)
	v_and_b32_e32 v72, s51, v2
	s_or_b32 exec_lo, exec_lo, s2
                                        ; implicit-def: $vgpr70
	s_and_saveexec_b32 s2, s36
	s_cbranch_execz .LBB25_186
.LBB25_329:
	ds_load_b32 v2, v12 offset:22528
	s_waitcnt lgkmcnt(0)
	v_lshrrev_b32_e32 v2, s64, v2
	s_delay_alu instid0(VALU_DEP_1)
	v_and_b32_e32 v70, s51, v2
	s_or_b32 exec_lo, exec_lo, s2
                                        ; implicit-def: $vgpr69
	s_and_saveexec_b32 s2, s37
	s_cbranch_execz .LBB25_187
.LBB25_330:
	ds_load_b32 v2, v12 offset:24576
	s_waitcnt lgkmcnt(0)
	v_lshrrev_b32_e32 v2, s64, v2
	s_delay_alu instid0(VALU_DEP_1)
	v_and_b32_e32 v69, s51, v2
	s_or_b32 exec_lo, exec_lo, s2
                                        ; implicit-def: $vgpr67
	s_and_saveexec_b32 s2, s38
	s_cbranch_execz .LBB25_188
.LBB25_331:
	ds_load_b32 v2, v12 offset:26624
	s_waitcnt lgkmcnt(0)
	v_lshrrev_b32_e32 v2, s64, v2
	s_delay_alu instid0(VALU_DEP_1)
	v_and_b32_e32 v67, s51, v2
	s_or_b32 exec_lo, exec_lo, s2
                                        ; implicit-def: $vgpr66
	s_and_saveexec_b32 s2, s39
	s_cbranch_execz .LBB25_189
.LBB25_332:
	ds_load_b32 v2, v12 offset:28672
	s_waitcnt lgkmcnt(0)
	v_lshrrev_b32_e32 v2, s64, v2
	s_delay_alu instid0(VALU_DEP_1)
	v_and_b32_e32 v66, s51, v2
	s_or_b32 exec_lo, exec_lo, s2
                                        ; implicit-def: $vgpr64
	s_and_saveexec_b32 s2, s40
	s_cbranch_execz .LBB25_190
.LBB25_333:
	ds_load_b32 v2, v12 offset:30720
	s_waitcnt lgkmcnt(0)
	v_lshrrev_b32_e32 v2, s64, v2
	s_delay_alu instid0(VALU_DEP_1)
	v_and_b32_e32 v64, s51, v2
	s_or_b32 exec_lo, exec_lo, s2
                                        ; implicit-def: $vgpr63
	s_and_saveexec_b32 s2, s41
	s_cbranch_execz .LBB25_191
.LBB25_334:
	ds_load_b32 v2, v12 offset:32768
	s_waitcnt lgkmcnt(0)
	v_lshrrev_b32_e32 v2, s64, v2
	s_delay_alu instid0(VALU_DEP_1)
	v_and_b32_e32 v63, s51, v2
	s_or_b32 exec_lo, exec_lo, s2
                                        ; implicit-def: $vgpr62
	s_and_saveexec_b32 s2, s42
	s_cbranch_execz .LBB25_192
.LBB25_335:
	ds_load_b32 v2, v12 offset:34816
	s_waitcnt lgkmcnt(0)
	v_lshrrev_b32_e32 v2, s64, v2
	s_delay_alu instid0(VALU_DEP_1)
	v_and_b32_e32 v62, s51, v2
	s_or_b32 exec_lo, exec_lo, s2
                                        ; implicit-def: $vgpr60
	s_and_saveexec_b32 s2, s43
	s_cbranch_execz .LBB25_193
.LBB25_336:
	ds_load_b32 v2, v12 offset:36864
	s_waitcnt lgkmcnt(0)
	v_lshrrev_b32_e32 v2, s64, v2
	s_delay_alu instid0(VALU_DEP_1)
	v_and_b32_e32 v60, s51, v2
	s_or_b32 exec_lo, exec_lo, s2
                                        ; implicit-def: $vgpr59
	s_and_saveexec_b32 s2, s44
	s_cbranch_execz .LBB25_194
.LBB25_337:
	ds_load_b32 v2, v12 offset:38912
	s_waitcnt lgkmcnt(0)
	v_lshrrev_b32_e32 v2, s64, v2
	s_delay_alu instid0(VALU_DEP_1)
	v_and_b32_e32 v59, s51, v2
	s_or_b32 exec_lo, exec_lo, s2
                                        ; implicit-def: $vgpr57
	s_and_saveexec_b32 s2, s45
	s_cbranch_execz .LBB25_195
.LBB25_338:
	ds_load_b32 v2, v12 offset:40960
	s_waitcnt lgkmcnt(0)
	v_lshrrev_b32_e32 v2, s64, v2
	s_delay_alu instid0(VALU_DEP_1)
	v_and_b32_e32 v57, s51, v2
	s_or_b32 exec_lo, exec_lo, s2
                                        ; implicit-def: $vgpr3
	s_and_saveexec_b32 s2, s46
	s_cbranch_execz .LBB25_196
.LBB25_339:
	ds_load_b32 v2, v12 offset:43008
	s_waitcnt lgkmcnt(0)
	v_lshrrev_b32_e32 v2, s64, v2
	s_delay_alu instid0(VALU_DEP_1)
	v_and_b32_e32 v3, s51, v2
	s_or_b32 exec_lo, exec_lo, s2
                                        ; implicit-def: $vgpr2
	s_and_saveexec_b32 s2, s47
	s_cbranch_execnz .LBB25_197
	s_branch .LBB25_198
.LBB25_340:
	v_lshlrev_b32_e32 v10, 3, v85
	ds_load_b64 v[15:16], v10
	ds_load_u8 v10, v1 offset:2048
	s_waitcnt lgkmcnt(1)
	v_add_co_u32 v12, vcc_lo, s58, v15
	v_add_co_ci_u32_e32 v16, vcc_lo, s59, v16, vcc_lo
	s_delay_alu instid0(VALU_DEP_2) | instskip(NEXT) | instid1(VALU_DEP_2)
	v_add_co_u32 v15, vcc_lo, v12, v1
	v_add_co_ci_u32_e32 v16, vcc_lo, 0, v16, vcc_lo
	s_waitcnt lgkmcnt(0)
	global_store_b8 v[15:16], v10, off
	s_or_b32 exec_lo, exec_lo, s2
	s_and_saveexec_b32 s2, s26
	s_cbranch_execz .LBB25_200
.LBB25_341:
	v_lshlrev_b32_e32 v10, 3, v83
	ds_load_b64 v[15:16], v10
	ds_load_u8 v10, v1 offset:2560
	s_waitcnt lgkmcnt(1)
	v_add_co_u32 v12, vcc_lo, s58, v15
	v_add_co_ci_u32_e32 v16, vcc_lo, s59, v16, vcc_lo
	s_delay_alu instid0(VALU_DEP_2) | instskip(NEXT) | instid1(VALU_DEP_2)
	v_add_co_u32 v15, vcc_lo, v12, v1
	v_add_co_ci_u32_e32 v16, vcc_lo, 0, v16, vcc_lo
	s_waitcnt lgkmcnt(0)
	global_store_b8 v[15:16], v10, off offset:512
	s_or_b32 exec_lo, exec_lo, s2
	s_and_saveexec_b32 s2, s27
	s_cbranch_execz .LBB25_201
.LBB25_342:
	v_lshlrev_b32_e32 v10, 3, v82
	ds_load_b64 v[15:16], v10
	ds_load_u8 v10, v1 offset:3072
	s_waitcnt lgkmcnt(1)
	v_add_co_u32 v12, vcc_lo, s58, v15
	v_add_co_ci_u32_e32 v16, vcc_lo, s59, v16, vcc_lo
	s_delay_alu instid0(VALU_DEP_2) | instskip(NEXT) | instid1(VALU_DEP_2)
	v_add_co_u32 v15, vcc_lo, v12, v1
	v_add_co_ci_u32_e32 v16, vcc_lo, 0, v16, vcc_lo
	s_waitcnt lgkmcnt(0)
	global_store_b8 v[15:16], v10, off offset:1024
	s_or_b32 exec_lo, exec_lo, s2
	s_and_saveexec_b32 s2, s28
	s_cbranch_execz .LBB25_202
.LBB25_343:
	v_lshlrev_b32_e32 v10, 3, v80
	ds_load_b64 v[15:16], v10
	ds_load_u8 v10, v1 offset:3584
	s_waitcnt lgkmcnt(1)
	v_add_co_u32 v12, vcc_lo, s58, v15
	v_add_co_ci_u32_e32 v16, vcc_lo, s59, v16, vcc_lo
	s_delay_alu instid0(VALU_DEP_2) | instskip(NEXT) | instid1(VALU_DEP_2)
	v_add_co_u32 v15, vcc_lo, v12, v1
	v_add_co_ci_u32_e32 v16, vcc_lo, 0, v16, vcc_lo
	s_waitcnt lgkmcnt(0)
	global_store_b8 v[15:16], v10, off offset:1536
	s_or_b32 exec_lo, exec_lo, s2
	s_and_saveexec_b32 s2, s29
	s_cbranch_execz .LBB25_203
.LBB25_344:
	v_lshlrev_b32_e32 v10, 3, v79
	ds_load_b64 v[15:16], v10
	ds_load_u8 v10, v1 offset:4096
	s_waitcnt lgkmcnt(1)
	v_add_co_u32 v12, vcc_lo, s58, v15
	v_add_co_ci_u32_e32 v16, vcc_lo, s59, v16, vcc_lo
	s_delay_alu instid0(VALU_DEP_2) | instskip(NEXT) | instid1(VALU_DEP_2)
	v_add_co_u32 v15, vcc_lo, v12, v1
	v_add_co_ci_u32_e32 v16, vcc_lo, 0, v16, vcc_lo
	s_waitcnt lgkmcnt(0)
	global_store_b8 v[15:16], v10, off offset:2048
	s_or_b32 exec_lo, exec_lo, s2
	s_and_saveexec_b32 s2, s30
	s_cbranch_execz .LBB25_204
.LBB25_345:
	v_lshlrev_b32_e32 v10, 3, v78
	ds_load_b64 v[15:16], v10
	ds_load_u8 v10, v1 offset:4608
	s_waitcnt lgkmcnt(1)
	v_add_co_u32 v12, vcc_lo, s58, v15
	v_add_co_ci_u32_e32 v16, vcc_lo, s59, v16, vcc_lo
	s_delay_alu instid0(VALU_DEP_2) | instskip(NEXT) | instid1(VALU_DEP_2)
	v_add_co_u32 v15, vcc_lo, v12, v1
	v_add_co_ci_u32_e32 v16, vcc_lo, 0, v16, vcc_lo
	s_waitcnt lgkmcnt(0)
	global_store_b8 v[15:16], v10, off offset:2560
	s_or_b32 exec_lo, exec_lo, s2
	s_and_saveexec_b32 s2, s31
	s_cbranch_execz .LBB25_205
.LBB25_346:
	v_lshlrev_b32_e32 v10, 3, v76
	ds_load_b64 v[15:16], v10
	ds_load_u8 v10, v1 offset:5120
	s_waitcnt lgkmcnt(1)
	v_add_co_u32 v12, vcc_lo, s58, v15
	v_add_co_ci_u32_e32 v16, vcc_lo, s59, v16, vcc_lo
	s_delay_alu instid0(VALU_DEP_2) | instskip(NEXT) | instid1(VALU_DEP_2)
	v_add_co_u32 v15, vcc_lo, v12, v1
	v_add_co_ci_u32_e32 v16, vcc_lo, 0, v16, vcc_lo
	s_waitcnt lgkmcnt(0)
	global_store_b8 v[15:16], v10, off offset:3072
	s_or_b32 exec_lo, exec_lo, s2
	s_and_saveexec_b32 s2, s33
	s_cbranch_execz .LBB25_206
.LBB25_347:
	v_lshlrev_b32_e32 v10, 3, v75
	ds_load_b64 v[15:16], v10
	ds_load_u8 v10, v1 offset:5632
	s_waitcnt lgkmcnt(1)
	v_add_co_u32 v12, vcc_lo, s58, v15
	v_add_co_ci_u32_e32 v16, vcc_lo, s59, v16, vcc_lo
	s_delay_alu instid0(VALU_DEP_2) | instskip(NEXT) | instid1(VALU_DEP_2)
	v_add_co_u32 v15, vcc_lo, v12, v1
	v_add_co_ci_u32_e32 v16, vcc_lo, 0, v16, vcc_lo
	s_waitcnt lgkmcnt(0)
	global_store_b8 v[15:16], v10, off offset:3584
	s_or_b32 exec_lo, exec_lo, s2
	s_and_saveexec_b32 s2, s34
	s_cbranch_execz .LBB25_207
.LBB25_348:
	v_lshlrev_b32_e32 v10, 3, v73
	ds_load_b64 v[15:16], v10
	ds_load_u8 v10, v1 offset:6144
	s_waitcnt lgkmcnt(1)
	v_add_co_u32 v12, vcc_lo, s58, v15
	v_add_co_ci_u32_e32 v16, vcc_lo, s59, v16, vcc_lo
	s_delay_alu instid0(VALU_DEP_2) | instskip(NEXT) | instid1(VALU_DEP_2)
	v_add_co_u32 v15, vcc_lo, v12, v4
	v_add_co_ci_u32_e32 v16, vcc_lo, 0, v16, vcc_lo
	s_waitcnt lgkmcnt(0)
	global_store_b8 v[15:16], v10, off
	s_or_b32 exec_lo, exec_lo, s2
	s_and_saveexec_b32 s2, s35
	s_cbranch_execz .LBB25_208
.LBB25_349:
	v_lshlrev_b32_e32 v4, 3, v72
	ds_load_b64 v[15:16], v4
	ds_load_u8 v10, v1 offset:6656
	s_waitcnt lgkmcnt(1)
	v_add_co_u32 v4, vcc_lo, s58, v15
	v_add_co_ci_u32_e32 v12, vcc_lo, s59, v16, vcc_lo
	s_delay_alu instid0(VALU_DEP_2) | instskip(NEXT) | instid1(VALU_DEP_2)
	v_add_co_u32 v4, vcc_lo, v4, v5
	v_add_co_ci_u32_e32 v5, vcc_lo, 0, v12, vcc_lo
	s_waitcnt lgkmcnt(0)
	global_store_b8 v[4:5], v10, off
	s_or_b32 exec_lo, exec_lo, s2
	s_and_saveexec_b32 s2, s36
	s_cbranch_execz .LBB25_209
.LBB25_350:
	v_lshlrev_b32_e32 v4, 3, v70
	ds_load_b64 v[4:5], v4
	ds_load_u8 v10, v1 offset:7168
	s_waitcnt lgkmcnt(1)
	v_add_co_u32 v4, vcc_lo, s58, v4
	v_add_co_ci_u32_e32 v5, vcc_lo, s59, v5, vcc_lo
	s_delay_alu instid0(VALU_DEP_2) | instskip(NEXT) | instid1(VALU_DEP_2)
	v_add_co_u32 v4, vcc_lo, v4, v6
	v_add_co_ci_u32_e32 v5, vcc_lo, 0, v5, vcc_lo
	s_waitcnt lgkmcnt(0)
	global_store_b8 v[4:5], v10, off
	s_or_b32 exec_lo, exec_lo, s2
	s_and_saveexec_b32 s2, s37
	s_cbranch_execz .LBB25_210
.LBB25_351:
	v_lshlrev_b32_e32 v4, 3, v69
	ds_load_b64 v[4:5], v4
	ds_load_u8 v6, v1 offset:7680
	s_waitcnt lgkmcnt(1)
	v_add_co_u32 v4, vcc_lo, s58, v4
	v_add_co_ci_u32_e32 v5, vcc_lo, s59, v5, vcc_lo
	s_delay_alu instid0(VALU_DEP_2) | instskip(NEXT) | instid1(VALU_DEP_2)
	v_add_co_u32 v4, vcc_lo, v4, v7
	v_add_co_ci_u32_e32 v5, vcc_lo, 0, v5, vcc_lo
	s_waitcnt lgkmcnt(0)
	global_store_b8 v[4:5], v6, off
	s_or_b32 exec_lo, exec_lo, s2
	s_and_saveexec_b32 s2, s38
	s_cbranch_execz .LBB25_211
.LBB25_352:
	v_lshlrev_b32_e32 v4, 3, v67
	ds_load_b64 v[4:5], v4
	ds_load_u8 v6, v1 offset:8192
	s_waitcnt lgkmcnt(1)
	v_add_co_u32 v4, vcc_lo, s58, v4
	v_add_co_ci_u32_e32 v5, vcc_lo, s59, v5, vcc_lo
	s_delay_alu instid0(VALU_DEP_2) | instskip(NEXT) | instid1(VALU_DEP_2)
	v_add_co_u32 v4, vcc_lo, v4, v13
	v_add_co_ci_u32_e32 v5, vcc_lo, 0, v5, vcc_lo
	s_waitcnt lgkmcnt(0)
	global_store_b8 v[4:5], v6, off
	s_or_b32 exec_lo, exec_lo, s2
	s_and_saveexec_b32 s2, s39
	s_cbranch_execz .LBB25_212
.LBB25_353:
	v_lshlrev_b32_e32 v4, 3, v66
	ds_load_b64 v[4:5], v4
	ds_load_u8 v6, v1 offset:8704
	s_waitcnt lgkmcnt(1)
	v_add_co_u32 v4, vcc_lo, s58, v4
	v_add_co_ci_u32_e32 v5, vcc_lo, s59, v5, vcc_lo
	s_delay_alu instid0(VALU_DEP_2) | instskip(NEXT) | instid1(VALU_DEP_2)
	v_add_co_u32 v4, vcc_lo, v4, v14
	v_add_co_ci_u32_e32 v5, vcc_lo, 0, v5, vcc_lo
	s_waitcnt lgkmcnt(0)
	global_store_b8 v[4:5], v6, off
	s_or_b32 exec_lo, exec_lo, s2
	s_and_saveexec_b32 s2, s40
	s_cbranch_execz .LBB25_213
.LBB25_354:
	v_lshlrev_b32_e32 v4, 3, v64
	ds_load_b64 v[4:5], v4
	ds_load_u8 v6, v1 offset:9216
	s_waitcnt lgkmcnt(1)
	v_add_co_u32 v4, vcc_lo, s58, v4
	v_add_co_ci_u32_e32 v5, vcc_lo, s59, v5, vcc_lo
	s_delay_alu instid0(VALU_DEP_2) | instskip(NEXT) | instid1(VALU_DEP_2)
	v_add_co_u32 v4, vcc_lo, v4, v18
	v_add_co_ci_u32_e32 v5, vcc_lo, 0, v5, vcc_lo
	s_waitcnt lgkmcnt(0)
	global_store_b8 v[4:5], v6, off
	s_or_b32 exec_lo, exec_lo, s2
	s_and_saveexec_b32 s2, s41
	s_cbranch_execz .LBB25_214
.LBB25_355:
	v_lshlrev_b32_e32 v4, 3, v63
	ds_load_b64 v[4:5], v4
	ds_load_u8 v6, v1 offset:9728
	s_waitcnt lgkmcnt(1)
	v_add_co_u32 v4, vcc_lo, s58, v4
	v_add_co_ci_u32_e32 v5, vcc_lo, s59, v5, vcc_lo
	s_delay_alu instid0(VALU_DEP_2) | instskip(NEXT) | instid1(VALU_DEP_2)
	v_add_co_u32 v4, vcc_lo, v4, v22
	v_add_co_ci_u32_e32 v5, vcc_lo, 0, v5, vcc_lo
	s_waitcnt lgkmcnt(0)
	global_store_b8 v[4:5], v6, off
	s_or_b32 exec_lo, exec_lo, s2
	s_and_saveexec_b32 s2, s42
	s_cbranch_execz .LBB25_215
.LBB25_356:
	v_lshlrev_b32_e32 v4, 3, v62
	ds_load_b64 v[4:5], v4
	ds_load_u8 v6, v1 offset:10240
	s_waitcnt lgkmcnt(1)
	v_add_co_u32 v4, vcc_lo, s58, v4
	v_add_co_ci_u32_e32 v5, vcc_lo, s59, v5, vcc_lo
	s_delay_alu instid0(VALU_DEP_2) | instskip(NEXT) | instid1(VALU_DEP_2)
	v_add_co_u32 v4, vcc_lo, v4, v26
	v_add_co_ci_u32_e32 v5, vcc_lo, 0, v5, vcc_lo
	s_waitcnt lgkmcnt(0)
	global_store_b8 v[4:5], v6, off
	s_or_b32 exec_lo, exec_lo, s2
	s_and_saveexec_b32 s2, s43
	s_cbranch_execz .LBB25_216
.LBB25_357:
	v_lshlrev_b32_e32 v4, 3, v60
	ds_load_b64 v[4:5], v4
	ds_load_u8 v6, v1 offset:10752
	s_waitcnt lgkmcnt(1)
	v_add_co_u32 v4, vcc_lo, s58, v4
	v_add_co_ci_u32_e32 v5, vcc_lo, s59, v5, vcc_lo
	s_delay_alu instid0(VALU_DEP_2) | instskip(NEXT) | instid1(VALU_DEP_2)
	v_add_co_u32 v4, vcc_lo, v4, v30
	v_add_co_ci_u32_e32 v5, vcc_lo, 0, v5, vcc_lo
	s_waitcnt lgkmcnt(0)
	global_store_b8 v[4:5], v6, off
	s_or_b32 exec_lo, exec_lo, s2
	s_and_saveexec_b32 s2, s44
	s_cbranch_execz .LBB25_217
.LBB25_358:
	v_lshlrev_b32_e32 v4, 3, v59
	ds_load_b64 v[4:5], v4
	ds_load_u8 v6, v1 offset:11264
	s_waitcnt lgkmcnt(1)
	v_add_co_u32 v4, vcc_lo, s58, v4
	v_add_co_ci_u32_e32 v5, vcc_lo, s59, v5, vcc_lo
	s_delay_alu instid0(VALU_DEP_2) | instskip(NEXT) | instid1(VALU_DEP_2)
	v_add_co_u32 v4, vcc_lo, v4, v34
	v_add_co_ci_u32_e32 v5, vcc_lo, 0, v5, vcc_lo
	s_waitcnt lgkmcnt(0)
	global_store_b8 v[4:5], v6, off
	s_or_b32 exec_lo, exec_lo, s2
	s_and_saveexec_b32 s2, s45
	s_cbranch_execz .LBB25_218
.LBB25_359:
	v_lshlrev_b32_e32 v4, 3, v57
	ds_load_b64 v[4:5], v4
	ds_load_u8 v6, v1 offset:11776
	s_waitcnt lgkmcnt(1)
	v_add_co_u32 v4, vcc_lo, s58, v4
	v_add_co_ci_u32_e32 v5, vcc_lo, s59, v5, vcc_lo
	s_delay_alu instid0(VALU_DEP_2) | instskip(NEXT) | instid1(VALU_DEP_2)
	v_add_co_u32 v4, vcc_lo, v4, v38
	v_add_co_ci_u32_e32 v5, vcc_lo, 0, v5, vcc_lo
	s_waitcnt lgkmcnt(0)
	global_store_b8 v[4:5], v6, off
	s_or_b32 exec_lo, exec_lo, s2
	s_and_saveexec_b32 s2, s46
	s_cbranch_execz .LBB25_219
.LBB25_360:
	v_lshlrev_b32_e32 v3, 3, v3
	ds_load_b64 v[3:4], v3
	ds_load_u8 v5, v1 offset:12288
	s_waitcnt lgkmcnt(1)
	v_add_co_u32 v3, vcc_lo, s58, v3
	v_add_co_ci_u32_e32 v4, vcc_lo, s59, v4, vcc_lo
	s_delay_alu instid0(VALU_DEP_2) | instskip(NEXT) | instid1(VALU_DEP_2)
	v_add_co_u32 v3, vcc_lo, v3, v43
	v_add_co_ci_u32_e32 v4, vcc_lo, 0, v4, vcc_lo
	s_waitcnt lgkmcnt(0)
	global_store_b8 v[3:4], v5, off
	s_or_b32 exec_lo, exec_lo, s2
	s_and_saveexec_b32 s2, s47
	s_cbranch_execnz .LBB25_220
	s_branch .LBB25_221
	.section	.rodata,"a",@progbits
	.p2align	6, 0x0
	.amdhsa_kernel _ZN7rocprim17ROCPRIM_304000_NS6detail25onesweep_iteration_kernelINS1_34wrapped_radix_sort_onesweep_configINS0_14default_configEiN2at4cuda3cub6detail10OpaqueTypeILi1EEEEELb0EPiSC_PSA_SD_mNS0_19identity_decomposerEEEvT1_T2_T3_T4_jPT5_SK_PNS1_23onesweep_lookback_stateET6_jjj
		.amdhsa_group_segment_fixed_size 47104
		.amdhsa_private_segment_fixed_size 0
		.amdhsa_kernarg_size 336
		.amdhsa_user_sgpr_count 15
		.amdhsa_user_sgpr_dispatch_ptr 0
		.amdhsa_user_sgpr_queue_ptr 0
		.amdhsa_user_sgpr_kernarg_segment_ptr 1
		.amdhsa_user_sgpr_dispatch_id 0
		.amdhsa_user_sgpr_private_segment_size 0
		.amdhsa_wavefront_size32 1
		.amdhsa_uses_dynamic_stack 0
		.amdhsa_enable_private_segment 0
		.amdhsa_system_sgpr_workgroup_id_x 1
		.amdhsa_system_sgpr_workgroup_id_y 0
		.amdhsa_system_sgpr_workgroup_id_z 0
		.amdhsa_system_sgpr_workgroup_info 0
		.amdhsa_system_vgpr_workitem_id 2
		.amdhsa_next_free_vgpr 106
		.amdhsa_next_free_sgpr 70
		.amdhsa_reserve_vcc 1
		.amdhsa_float_round_mode_32 0
		.amdhsa_float_round_mode_16_64 0
		.amdhsa_float_denorm_mode_32 3
		.amdhsa_float_denorm_mode_16_64 3
		.amdhsa_dx10_clamp 1
		.amdhsa_ieee_mode 1
		.amdhsa_fp16_overflow 0
		.amdhsa_workgroup_processor_mode 1
		.amdhsa_memory_ordered 1
		.amdhsa_forward_progress 0
		.amdhsa_shared_vgpr_count 0
		.amdhsa_exception_fp_ieee_invalid_op 0
		.amdhsa_exception_fp_denorm_src 0
		.amdhsa_exception_fp_ieee_div_zero 0
		.amdhsa_exception_fp_ieee_overflow 0
		.amdhsa_exception_fp_ieee_underflow 0
		.amdhsa_exception_fp_ieee_inexact 0
		.amdhsa_exception_int_div_zero 0
	.end_amdhsa_kernel
	.section	.text._ZN7rocprim17ROCPRIM_304000_NS6detail25onesweep_iteration_kernelINS1_34wrapped_radix_sort_onesweep_configINS0_14default_configEiN2at4cuda3cub6detail10OpaqueTypeILi1EEEEELb0EPiSC_PSA_SD_mNS0_19identity_decomposerEEEvT1_T2_T3_T4_jPT5_SK_PNS1_23onesweep_lookback_stateET6_jjj,"axG",@progbits,_ZN7rocprim17ROCPRIM_304000_NS6detail25onesweep_iteration_kernelINS1_34wrapped_radix_sort_onesweep_configINS0_14default_configEiN2at4cuda3cub6detail10OpaqueTypeILi1EEEEELb0EPiSC_PSA_SD_mNS0_19identity_decomposerEEEvT1_T2_T3_T4_jPT5_SK_PNS1_23onesweep_lookback_stateET6_jjj,comdat
.Lfunc_end25:
	.size	_ZN7rocprim17ROCPRIM_304000_NS6detail25onesweep_iteration_kernelINS1_34wrapped_radix_sort_onesweep_configINS0_14default_configEiN2at4cuda3cub6detail10OpaqueTypeILi1EEEEELb0EPiSC_PSA_SD_mNS0_19identity_decomposerEEEvT1_T2_T3_T4_jPT5_SK_PNS1_23onesweep_lookback_stateET6_jjj, .Lfunc_end25-_ZN7rocprim17ROCPRIM_304000_NS6detail25onesweep_iteration_kernelINS1_34wrapped_radix_sort_onesweep_configINS0_14default_configEiN2at4cuda3cub6detail10OpaqueTypeILi1EEEEELb0EPiSC_PSA_SD_mNS0_19identity_decomposerEEEvT1_T2_T3_T4_jPT5_SK_PNS1_23onesweep_lookback_stateET6_jjj
                                        ; -- End function
	.section	.AMDGPU.csdata,"",@progbits
; Kernel info:
; codeLenInByte = 32156
; NumSgprs: 72
; NumVgprs: 106
; ScratchSize: 0
; MemoryBound: 0
; FloatMode: 240
; IeeeMode: 1
; LDSByteSize: 47104 bytes/workgroup (compile time only)
; SGPRBlocks: 8
; VGPRBlocks: 13
; NumSGPRsForWavesPerEU: 72
; NumVGPRsForWavesPerEU: 106
; Occupancy: 8
; WaveLimiterHint : 1
; COMPUTE_PGM_RSRC2:SCRATCH_EN: 0
; COMPUTE_PGM_RSRC2:USER_SGPR: 15
; COMPUTE_PGM_RSRC2:TRAP_HANDLER: 0
; COMPUTE_PGM_RSRC2:TGID_X_EN: 1
; COMPUTE_PGM_RSRC2:TGID_Y_EN: 0
; COMPUTE_PGM_RSRC2:TGID_Z_EN: 0
; COMPUTE_PGM_RSRC2:TIDIG_COMP_CNT: 2
	.text
	.p2alignl 7, 3214868480
	.fill 96, 4, 3214868480
	.type	__hip_cuid_e72691965961b3ac,@object ; @__hip_cuid_e72691965961b3ac
	.section	.bss,"aw",@nobits
	.globl	__hip_cuid_e72691965961b3ac
__hip_cuid_e72691965961b3ac:
	.byte	0                               ; 0x0
	.size	__hip_cuid_e72691965961b3ac, 1

	.ident	"AMD clang version 19.0.0git (https://github.com/RadeonOpenCompute/llvm-project roc-6.4.0 25133 c7fe45cf4b819c5991fe208aaa96edf142730f1d)"
	.section	".note.GNU-stack","",@progbits
	.addrsig
	.addrsig_sym __hip_cuid_e72691965961b3ac
	.amdgpu_metadata
---
amdhsa.kernels:
  - .args:
      - .address_space:  global
        .offset:         0
        .size:           8
        .value_kind:     global_buffer
      - .address_space:  global
        .offset:         8
        .size:           8
        .value_kind:     global_buffer
      - .address_space:  global
        .offset:         16
        .size:           8
        .value_kind:     global_buffer
      - .address_space:  global
        .offset:         24
        .size:           8
        .value_kind:     global_buffer
      - .offset:         32
        .size:           4
        .value_kind:     by_value
      - .offset:         36
        .size:           1
        .value_kind:     by_value
      - .offset:         40
        .size:           4
        .value_kind:     by_value
      - .offset:         44
        .size:           4
        .value_kind:     by_value
      - .offset:         48
        .size:           4
        .value_kind:     hidden_block_count_x
      - .offset:         52
        .size:           4
        .value_kind:     hidden_block_count_y
      - .offset:         56
        .size:           4
        .value_kind:     hidden_block_count_z
      - .offset:         60
        .size:           2
        .value_kind:     hidden_group_size_x
      - .offset:         62
        .size:           2
        .value_kind:     hidden_group_size_y
      - .offset:         64
        .size:           2
        .value_kind:     hidden_group_size_z
      - .offset:         66
        .size:           2
        .value_kind:     hidden_remainder_x
      - .offset:         68
        .size:           2
        .value_kind:     hidden_remainder_y
      - .offset:         70
        .size:           2
        .value_kind:     hidden_remainder_z
      - .offset:         88
        .size:           8
        .value_kind:     hidden_global_offset_x
      - .offset:         96
        .size:           8
        .value_kind:     hidden_global_offset_y
      - .offset:         104
        .size:           8
        .value_kind:     hidden_global_offset_z
      - .offset:         112
        .size:           2
        .value_kind:     hidden_grid_dims
    .group_segment_fixed_size: 8224
    .kernarg_segment_align: 8
    .kernarg_segment_size: 304
    .language:       OpenCL C
    .language_version:
      - 2
      - 0
    .max_flat_workgroup_size: 256
    .name:           _ZN7rocprim17ROCPRIM_304000_NS6detail28radix_sort_block_sort_kernelINS1_36wrapped_radix_sort_block_sort_configINS0_13kernel_configILj256ELj4ELj4294967295EEEiN2at4cuda3cub6detail10OpaqueTypeILi1EEEEELb1EPKiPiPKSB_PSB_NS0_19identity_decomposerEEEvT1_T2_T3_T4_jT5_jj
    .private_segment_fixed_size: 0
    .sgpr_count:     34
    .sgpr_spill_count: 0
    .symbol:         _ZN7rocprim17ROCPRIM_304000_NS6detail28radix_sort_block_sort_kernelINS1_36wrapped_radix_sort_block_sort_configINS0_13kernel_configILj256ELj4ELj4294967295EEEiN2at4cuda3cub6detail10OpaqueTypeILi1EEEEELb1EPKiPiPKSB_PSB_NS0_19identity_decomposerEEEvT1_T2_T3_T4_jT5_jj.kd
    .uniform_work_group_size: 1
    .uses_dynamic_stack: false
    .vgpr_count:     51
    .vgpr_spill_count: 0
    .wavefront_size: 32
    .workgroup_processor_mode: 1
  - .args:           []
    .group_segment_fixed_size: 0
    .kernarg_segment_align: 4
    .kernarg_segment_size: 0
    .language:       OpenCL C
    .language_version:
      - 2
      - 0
    .max_flat_workgroup_size: 1024
    .name:           _ZN7rocprim17ROCPRIM_304000_NS6detail39device_merge_sort_compile_time_verifierINS1_36wrapped_merge_sort_block_sort_configINS1_28merge_sort_block_sort_configILj256ELj4ELNS0_20block_sort_algorithmE0EEEiN2at4cuda3cub6detail10OpaqueTypeILi1EEEEENS1_37wrapped_merge_sort_block_merge_configINS0_14default_configEiSC_EEEEvv
    .private_segment_fixed_size: 0
    .sgpr_count:     0
    .sgpr_spill_count: 0
    .symbol:         _ZN7rocprim17ROCPRIM_304000_NS6detail39device_merge_sort_compile_time_verifierINS1_36wrapped_merge_sort_block_sort_configINS1_28merge_sort_block_sort_configILj256ELj4ELNS0_20block_sort_algorithmE0EEEiN2at4cuda3cub6detail10OpaqueTypeILi1EEEEENS1_37wrapped_merge_sort_block_merge_configINS0_14default_configEiSC_EEEEvv.kd
    .uniform_work_group_size: 1
    .uses_dynamic_stack: false
    .vgpr_count:     0
    .vgpr_spill_count: 0
    .wavefront_size: 32
    .workgroup_processor_mode: 1
  - .args:
      - .address_space:  global
        .offset:         0
        .size:           8
        .value_kind:     global_buffer
      - .offset:         8
        .size:           4
        .value_kind:     by_value
      - .offset:         12
        .size:           4
        .value_kind:     by_value
      - .address_space:  global
        .offset:         16
        .size:           8
        .value_kind:     global_buffer
      - .offset:         24
        .size:           1
        .value_kind:     by_value
      - .offset:         28
        .size:           4
        .value_kind:     by_value
    .group_segment_fixed_size: 0
    .kernarg_segment_align: 8
    .kernarg_segment_size: 32
    .language:       OpenCL C
    .language_version:
      - 2
      - 0
    .max_flat_workgroup_size: 128
    .name:           _ZN7rocprim17ROCPRIM_304000_NS6detail45device_block_merge_mergepath_partition_kernelINS1_37wrapped_merge_sort_block_merge_configINS0_14default_configEiN2at4cuda3cub6detail10OpaqueTypeILi1EEEEEPijNS1_19radix_merge_compareILb1ELb0EiNS0_19identity_decomposerEEEEEvT0_T1_jPSH_T2_SH_
    .private_segment_fixed_size: 0
    .sgpr_count:     18
    .sgpr_spill_count: 0
    .symbol:         _ZN7rocprim17ROCPRIM_304000_NS6detail45device_block_merge_mergepath_partition_kernelINS1_37wrapped_merge_sort_block_merge_configINS0_14default_configEiN2at4cuda3cub6detail10OpaqueTypeILi1EEEEEPijNS1_19radix_merge_compareILb1ELb0EiNS0_19identity_decomposerEEEEEvT0_T1_jPSH_T2_SH_.kd
    .uniform_work_group_size: 1
    .uses_dynamic_stack: false
    .vgpr_count:     15
    .vgpr_spill_count: 0
    .wavefront_size: 32
    .workgroup_processor_mode: 1
  - .args:
      - .address_space:  global
        .offset:         0
        .size:           8
        .value_kind:     global_buffer
      - .address_space:  global
        .offset:         8
        .size:           8
        .value_kind:     global_buffer
      - .address_space:  global
        .offset:         16
        .size:           8
        .value_kind:     global_buffer
      - .address_space:  global
        .offset:         24
        .size:           8
        .value_kind:     global_buffer
      - .offset:         32
        .size:           4
        .value_kind:     by_value
      - .offset:         36
        .size:           4
        .value_kind:     by_value
      - .offset:         40
        .size:           4
        .value_kind:     by_value
      - .offset:         44
        .size:           1
        .value_kind:     by_value
      - .address_space:  global
        .offset:         48
        .size:           8
        .value_kind:     global_buffer
      - .address_space:  global
        .offset:         56
        .size:           8
        .value_kind:     global_buffer
      - .offset:         64
        .size:           4
        .value_kind:     hidden_block_count_x
      - .offset:         68
        .size:           4
        .value_kind:     hidden_block_count_y
      - .offset:         72
        .size:           4
        .value_kind:     hidden_block_count_z
      - .offset:         76
        .size:           2
        .value_kind:     hidden_group_size_x
      - .offset:         78
        .size:           2
        .value_kind:     hidden_group_size_y
      - .offset:         80
        .size:           2
        .value_kind:     hidden_group_size_z
      - .offset:         82
        .size:           2
        .value_kind:     hidden_remainder_x
      - .offset:         84
        .size:           2
        .value_kind:     hidden_remainder_y
      - .offset:         86
        .size:           2
        .value_kind:     hidden_remainder_z
      - .offset:         104
        .size:           8
        .value_kind:     hidden_global_offset_x
      - .offset:         112
        .size:           8
        .value_kind:     hidden_global_offset_y
      - .offset:         120
        .size:           8
        .value_kind:     hidden_global_offset_z
      - .offset:         128
        .size:           2
        .value_kind:     hidden_grid_dims
    .group_segment_fixed_size: 4224
    .kernarg_segment_align: 8
    .kernarg_segment_size: 320
    .language:       OpenCL C
    .language_version:
      - 2
      - 0
    .max_flat_workgroup_size: 256
    .name:           _ZN7rocprim17ROCPRIM_304000_NS6detail35device_block_merge_mergepath_kernelINS1_37wrapped_merge_sort_block_merge_configINS0_14default_configEiN2at4cuda3cub6detail10OpaqueTypeILi1EEEEEPiSC_PSA_SD_jNS1_19radix_merge_compareILb1ELb0EiNS0_19identity_decomposerEEEEEvT0_T1_T2_T3_T4_SL_jT5_PKSL_NS1_7vsmem_tE
    .private_segment_fixed_size: 0
    .sgpr_count:     30
    .sgpr_spill_count: 0
    .symbol:         _ZN7rocprim17ROCPRIM_304000_NS6detail35device_block_merge_mergepath_kernelINS1_37wrapped_merge_sort_block_merge_configINS0_14default_configEiN2at4cuda3cub6detail10OpaqueTypeILi1EEEEEPiSC_PSA_SD_jNS1_19radix_merge_compareILb1ELb0EiNS0_19identity_decomposerEEEEEvT0_T1_T2_T3_T4_SL_jT5_PKSL_NS1_7vsmem_tE.kd
    .uniform_work_group_size: 1
    .uses_dynamic_stack: false
    .vgpr_count:     27
    .vgpr_spill_count: 0
    .wavefront_size: 32
    .workgroup_processor_mode: 1
  - .args:
      - .address_space:  global
        .offset:         0
        .size:           8
        .value_kind:     global_buffer
      - .address_space:  global
        .offset:         8
        .size:           8
        .value_kind:     global_buffer
      - .address_space:  global
        .offset:         16
        .size:           8
        .value_kind:     global_buffer
      - .address_space:  global
        .offset:         24
        .size:           8
        .value_kind:     global_buffer
      - .offset:         32
        .size:           4
        .value_kind:     by_value
      - .offset:         36
        .size:           4
        .value_kind:     by_value
      - .offset:         40
        .size:           1
        .value_kind:     by_value
    .group_segment_fixed_size: 0
    .kernarg_segment_align: 8
    .kernarg_segment_size: 44
    .language:       OpenCL C
    .language_version:
      - 2
      - 0
    .max_flat_workgroup_size: 256
    .name:           _ZN7rocprim17ROCPRIM_304000_NS6detail33device_block_merge_oddeven_kernelINS1_37wrapped_merge_sort_block_merge_configINS0_14default_configEiN2at4cuda3cub6detail10OpaqueTypeILi1EEEEEPiSC_PSA_SD_jNS1_19radix_merge_compareILb1ELb0EiNS0_19identity_decomposerEEEEEvT0_T1_T2_T3_T4_SL_T5_
    .private_segment_fixed_size: 0
    .sgpr_count:     20
    .sgpr_spill_count: 0
    .symbol:         _ZN7rocprim17ROCPRIM_304000_NS6detail33device_block_merge_oddeven_kernelINS1_37wrapped_merge_sort_block_merge_configINS0_14default_configEiN2at4cuda3cub6detail10OpaqueTypeILi1EEEEEPiSC_PSA_SD_jNS1_19radix_merge_compareILb1ELb0EiNS0_19identity_decomposerEEEEEvT0_T1_T2_T3_T4_SL_T5_.kd
    .uniform_work_group_size: 1
    .uses_dynamic_stack: false
    .vgpr_count:     9
    .vgpr_spill_count: 0
    .wavefront_size: 32
    .workgroup_processor_mode: 1
  - .args:
      - .address_space:  global
        .offset:         0
        .size:           8
        .value_kind:     global_buffer
      - .offset:         8
        .size:           8
        .value_kind:     by_value
      - .address_space:  global
        .offset:         16
        .size:           8
        .value_kind:     global_buffer
      - .offset:         24
        .size:           1
        .value_kind:     by_value
      - .offset:         32
        .size:           4
        .value_kind:     hidden_block_count_x
      - .offset:         36
        .size:           4
        .value_kind:     hidden_block_count_y
      - .offset:         40
        .size:           4
        .value_kind:     hidden_block_count_z
      - .offset:         44
        .size:           2
        .value_kind:     hidden_group_size_x
      - .offset:         46
        .size:           2
        .value_kind:     hidden_group_size_y
      - .offset:         48
        .size:           2
        .value_kind:     hidden_group_size_z
      - .offset:         50
        .size:           2
        .value_kind:     hidden_remainder_x
      - .offset:         52
        .size:           2
        .value_kind:     hidden_remainder_y
      - .offset:         54
        .size:           2
        .value_kind:     hidden_remainder_z
      - .offset:         72
        .size:           8
        .value_kind:     hidden_global_offset_x
      - .offset:         80
        .size:           8
        .value_kind:     hidden_global_offset_y
      - .offset:         88
        .size:           8
        .value_kind:     hidden_global_offset_z
      - .offset:         96
        .size:           2
        .value_kind:     hidden_grid_dims
    .group_segment_fixed_size: 0
    .kernarg_segment_align: 8
    .kernarg_segment_size: 288
    .language:       OpenCL C
    .language_version:
      - 2
      - 0
    .max_flat_workgroup_size: 256
    .name:           _ZN7rocprim17ROCPRIM_304000_NS6detail16transform_kernelINS1_24wrapped_transform_configINS0_14default_configEiEEiPiS6_NS0_8identityIiEEEEvT1_mT2_T3_
    .private_segment_fixed_size: 0
    .sgpr_count:     24
    .sgpr_spill_count: 0
    .symbol:         _ZN7rocprim17ROCPRIM_304000_NS6detail16transform_kernelINS1_24wrapped_transform_configINS0_14default_configEiEEiPiS6_NS0_8identityIiEEEEvT1_mT2_T3_.kd
    .uniform_work_group_size: 1
    .uses_dynamic_stack: false
    .vgpr_count:     28
    .vgpr_spill_count: 0
    .wavefront_size: 32
    .workgroup_processor_mode: 1
  - .args:
      - .address_space:  global
        .offset:         0
        .size:           8
        .value_kind:     global_buffer
      - .offset:         8
        .size:           8
        .value_kind:     by_value
      - .address_space:  global
        .offset:         16
        .size:           8
        .value_kind:     global_buffer
      - .offset:         24
        .size:           1
        .value_kind:     by_value
      - .offset:         32
        .size:           4
        .value_kind:     hidden_block_count_x
      - .offset:         36
        .size:           4
        .value_kind:     hidden_block_count_y
      - .offset:         40
        .size:           4
        .value_kind:     hidden_block_count_z
      - .offset:         44
        .size:           2
        .value_kind:     hidden_group_size_x
      - .offset:         46
        .size:           2
        .value_kind:     hidden_group_size_y
      - .offset:         48
        .size:           2
        .value_kind:     hidden_group_size_z
      - .offset:         50
        .size:           2
        .value_kind:     hidden_remainder_x
      - .offset:         52
        .size:           2
        .value_kind:     hidden_remainder_y
      - .offset:         54
        .size:           2
        .value_kind:     hidden_remainder_z
      - .offset:         72
        .size:           8
        .value_kind:     hidden_global_offset_x
      - .offset:         80
        .size:           8
        .value_kind:     hidden_global_offset_y
      - .offset:         88
        .size:           8
        .value_kind:     hidden_global_offset_z
      - .offset:         96
        .size:           2
        .value_kind:     hidden_grid_dims
    .group_segment_fixed_size: 0
    .kernarg_segment_align: 8
    .kernarg_segment_size: 288
    .language:       OpenCL C
    .language_version:
      - 2
      - 0
    .max_flat_workgroup_size: 1024
    .name:           _ZN7rocprim17ROCPRIM_304000_NS6detail16transform_kernelINS1_24wrapped_transform_configINS0_14default_configEN2at4cuda3cub6detail10OpaqueTypeILi1EEEEESA_PSA_SC_NS0_8identityISA_EEEEvT1_mT2_T3_
    .private_segment_fixed_size: 0
    .sgpr_count:     18
    .sgpr_spill_count: 0
    .symbol:         _ZN7rocprim17ROCPRIM_304000_NS6detail16transform_kernelINS1_24wrapped_transform_configINS0_14default_configEN2at4cuda3cub6detail10OpaqueTypeILi1EEEEESA_PSA_SC_NS0_8identityISA_EEEEvT1_mT2_T3_.kd
    .uniform_work_group_size: 1
    .uses_dynamic_stack: false
    .vgpr_count:     9
    .vgpr_spill_count: 0
    .wavefront_size: 32
    .workgroup_processor_mode: 1
  - .args:
      - .address_space:  global
        .offset:         0
        .size:           8
        .value_kind:     global_buffer
      - .offset:         8
        .size:           4
        .value_kind:     by_value
      - .offset:         12
        .size:           4
        .value_kind:     by_value
      - .address_space:  global
        .offset:         16
        .size:           8
        .value_kind:     global_buffer
      - .offset:         24
        .size:           4
        .value_kind:     by_value
      - .offset:         28
        .size:           4
        .value_kind:     by_value
    .group_segment_fixed_size: 0
    .kernarg_segment_align: 8
    .kernarg_segment_size: 32
    .language:       OpenCL C
    .language_version:
      - 2
      - 0
    .max_flat_workgroup_size: 128
    .name:           _ZN7rocprim17ROCPRIM_304000_NS6detail45device_block_merge_mergepath_partition_kernelINS1_37wrapped_merge_sort_block_merge_configINS0_14default_configEiN2at4cuda3cub6detail10OpaqueTypeILi1EEEEEPijNS1_19radix_merge_compareILb1ELb1EiNS0_19identity_decomposerEEEEEvT0_T1_jPSH_T2_SH_
    .private_segment_fixed_size: 0
    .sgpr_count:     18
    .sgpr_spill_count: 0
    .symbol:         _ZN7rocprim17ROCPRIM_304000_NS6detail45device_block_merge_mergepath_partition_kernelINS1_37wrapped_merge_sort_block_merge_configINS0_14default_configEiN2at4cuda3cub6detail10OpaqueTypeILi1EEEEEPijNS1_19radix_merge_compareILb1ELb1EiNS0_19identity_decomposerEEEEEvT0_T1_jPSH_T2_SH_.kd
    .uniform_work_group_size: 1
    .uses_dynamic_stack: false
    .vgpr_count:     15
    .vgpr_spill_count: 0
    .wavefront_size: 32
    .workgroup_processor_mode: 1
  - .args:
      - .address_space:  global
        .offset:         0
        .size:           8
        .value_kind:     global_buffer
      - .address_space:  global
        .offset:         8
        .size:           8
        .value_kind:     global_buffer
      - .address_space:  global
        .offset:         16
        .size:           8
        .value_kind:     global_buffer
      - .address_space:  global
        .offset:         24
        .size:           8
        .value_kind:     global_buffer
      - .offset:         32
        .size:           4
        .value_kind:     by_value
      - .offset:         36
        .size:           4
        .value_kind:     by_value
      - .offset:         40
        .size:           4
        .value_kind:     by_value
      - .offset:         44
        .size:           4
        .value_kind:     by_value
      - .address_space:  global
        .offset:         48
        .size:           8
        .value_kind:     global_buffer
      - .address_space:  global
        .offset:         56
        .size:           8
        .value_kind:     global_buffer
      - .offset:         64
        .size:           4
        .value_kind:     hidden_block_count_x
      - .offset:         68
        .size:           4
        .value_kind:     hidden_block_count_y
      - .offset:         72
        .size:           4
        .value_kind:     hidden_block_count_z
      - .offset:         76
        .size:           2
        .value_kind:     hidden_group_size_x
      - .offset:         78
        .size:           2
        .value_kind:     hidden_group_size_y
      - .offset:         80
        .size:           2
        .value_kind:     hidden_group_size_z
      - .offset:         82
        .size:           2
        .value_kind:     hidden_remainder_x
      - .offset:         84
        .size:           2
        .value_kind:     hidden_remainder_y
      - .offset:         86
        .size:           2
        .value_kind:     hidden_remainder_z
      - .offset:         104
        .size:           8
        .value_kind:     hidden_global_offset_x
      - .offset:         112
        .size:           8
        .value_kind:     hidden_global_offset_y
      - .offset:         120
        .size:           8
        .value_kind:     hidden_global_offset_z
      - .offset:         128
        .size:           2
        .value_kind:     hidden_grid_dims
    .group_segment_fixed_size: 4224
    .kernarg_segment_align: 8
    .kernarg_segment_size: 320
    .language:       OpenCL C
    .language_version:
      - 2
      - 0
    .max_flat_workgroup_size: 256
    .name:           _ZN7rocprim17ROCPRIM_304000_NS6detail35device_block_merge_mergepath_kernelINS1_37wrapped_merge_sort_block_merge_configINS0_14default_configEiN2at4cuda3cub6detail10OpaqueTypeILi1EEEEEPiSC_PSA_SD_jNS1_19radix_merge_compareILb1ELb1EiNS0_19identity_decomposerEEEEEvT0_T1_T2_T3_T4_SL_jT5_PKSL_NS1_7vsmem_tE
    .private_segment_fixed_size: 0
    .sgpr_count:     31
    .sgpr_spill_count: 0
    .symbol:         _ZN7rocprim17ROCPRIM_304000_NS6detail35device_block_merge_mergepath_kernelINS1_37wrapped_merge_sort_block_merge_configINS0_14default_configEiN2at4cuda3cub6detail10OpaqueTypeILi1EEEEEPiSC_PSA_SD_jNS1_19radix_merge_compareILb1ELb1EiNS0_19identity_decomposerEEEEEvT0_T1_T2_T3_T4_SL_jT5_PKSL_NS1_7vsmem_tE.kd
    .uniform_work_group_size: 1
    .uses_dynamic_stack: false
    .vgpr_count:     27
    .vgpr_spill_count: 0
    .wavefront_size: 32
    .workgroup_processor_mode: 1
  - .args:
      - .address_space:  global
        .offset:         0
        .size:           8
        .value_kind:     global_buffer
      - .address_space:  global
        .offset:         8
        .size:           8
        .value_kind:     global_buffer
      - .address_space:  global
        .offset:         16
        .size:           8
        .value_kind:     global_buffer
      - .address_space:  global
        .offset:         24
        .size:           8
        .value_kind:     global_buffer
      - .offset:         32
        .size:           4
        .value_kind:     by_value
      - .offset:         36
        .size:           4
        .value_kind:     by_value
      - .offset:         40
        .size:           4
        .value_kind:     by_value
    .group_segment_fixed_size: 0
    .kernarg_segment_align: 8
    .kernarg_segment_size: 44
    .language:       OpenCL C
    .language_version:
      - 2
      - 0
    .max_flat_workgroup_size: 256
    .name:           _ZN7rocprim17ROCPRIM_304000_NS6detail33device_block_merge_oddeven_kernelINS1_37wrapped_merge_sort_block_merge_configINS0_14default_configEiN2at4cuda3cub6detail10OpaqueTypeILi1EEEEEPiSC_PSA_SD_jNS1_19radix_merge_compareILb1ELb1EiNS0_19identity_decomposerEEEEEvT0_T1_T2_T3_T4_SL_T5_
    .private_segment_fixed_size: 0
    .sgpr_count:     22
    .sgpr_spill_count: 0
    .symbol:         _ZN7rocprim17ROCPRIM_304000_NS6detail33device_block_merge_oddeven_kernelINS1_37wrapped_merge_sort_block_merge_configINS0_14default_configEiN2at4cuda3cub6detail10OpaqueTypeILi1EEEEEPiSC_PSA_SD_jNS1_19radix_merge_compareILb1ELb1EiNS0_19identity_decomposerEEEEEvT0_T1_T2_T3_T4_SL_T5_.kd
    .uniform_work_group_size: 1
    .uses_dynamic_stack: false
    .vgpr_count:     10
    .vgpr_spill_count: 0
    .wavefront_size: 32
    .workgroup_processor_mode: 1
  - .args:
      - .address_space:  global
        .offset:         0
        .size:           8
        .value_kind:     global_buffer
      - .address_space:  global
        .offset:         8
        .size:           8
        .value_kind:     global_buffer
      - .offset:         16
        .size:           8
        .value_kind:     by_value
      - .offset:         24
        .size:           8
        .value_kind:     by_value
      - .offset:         32
        .size:           1
        .value_kind:     by_value
      - .offset:         36
        .size:           4
        .value_kind:     by_value
      - .offset:         40
        .size:           4
        .value_kind:     by_value
    .group_segment_fixed_size: 16384
    .kernarg_segment_align: 8
    .kernarg_segment_size: 44
    .language:       OpenCL C
    .language_version:
      - 2
      - 0
    .max_flat_workgroup_size: 512
    .name:           _ZN7rocprim17ROCPRIM_304000_NS6detail26onesweep_histograms_kernelINS1_34wrapped_radix_sort_onesweep_configINS0_14default_configEiN2at4cuda3cub6detail10OpaqueTypeILi1EEEEELb1EPKimNS0_19identity_decomposerEEEvT1_PT2_SG_SG_T3_jj
    .private_segment_fixed_size: 0
    .sgpr_count:     36
    .sgpr_spill_count: 0
    .symbol:         _ZN7rocprim17ROCPRIM_304000_NS6detail26onesweep_histograms_kernelINS1_34wrapped_radix_sort_onesweep_configINS0_14default_configEiN2at4cuda3cub6detail10OpaqueTypeILi1EEEEELb1EPKimNS0_19identity_decomposerEEEvT1_PT2_SG_SG_T3_jj.kd
    .uniform_work_group_size: 1
    .uses_dynamic_stack: false
    .vgpr_count:     35
    .vgpr_spill_count: 0
    .wavefront_size: 32
    .workgroup_processor_mode: 1
  - .args:
      - .address_space:  global
        .offset:         0
        .size:           8
        .value_kind:     global_buffer
    .group_segment_fixed_size: 128
    .kernarg_segment_align: 8
    .kernarg_segment_size: 8
    .language:       OpenCL C
    .language_version:
      - 2
      - 0
    .max_flat_workgroup_size: 512
    .name:           _ZN7rocprim17ROCPRIM_304000_NS6detail31onesweep_scan_histograms_kernelINS1_34wrapped_radix_sort_onesweep_configINS0_14default_configEiN2at4cuda3cub6detail10OpaqueTypeILi1EEEEEmEEvPT0_
    .private_segment_fixed_size: 0
    .sgpr_count:     18
    .sgpr_spill_count: 0
    .symbol:         _ZN7rocprim17ROCPRIM_304000_NS6detail31onesweep_scan_histograms_kernelINS1_34wrapped_radix_sort_onesweep_configINS0_14default_configEiN2at4cuda3cub6detail10OpaqueTypeILi1EEEEEmEEvPT0_.kd
    .uniform_work_group_size: 1
    .uses_dynamic_stack: false
    .vgpr_count:     11
    .vgpr_spill_count: 0
    .wavefront_size: 32
    .workgroup_processor_mode: 1
  - .args:
      - .address_space:  global
        .offset:         0
        .size:           8
        .value_kind:     global_buffer
      - .offset:         8
        .size:           8
        .value_kind:     by_value
      - .address_space:  global
        .offset:         16
        .size:           8
        .value_kind:     global_buffer
      - .offset:         24
        .size:           1
        .value_kind:     by_value
      - .offset:         32
        .size:           4
        .value_kind:     hidden_block_count_x
      - .offset:         36
        .size:           4
        .value_kind:     hidden_block_count_y
      - .offset:         40
        .size:           4
        .value_kind:     hidden_block_count_z
      - .offset:         44
        .size:           2
        .value_kind:     hidden_group_size_x
      - .offset:         46
        .size:           2
        .value_kind:     hidden_group_size_y
      - .offset:         48
        .size:           2
        .value_kind:     hidden_group_size_z
      - .offset:         50
        .size:           2
        .value_kind:     hidden_remainder_x
      - .offset:         52
        .size:           2
        .value_kind:     hidden_remainder_y
      - .offset:         54
        .size:           2
        .value_kind:     hidden_remainder_z
      - .offset:         72
        .size:           8
        .value_kind:     hidden_global_offset_x
      - .offset:         80
        .size:           8
        .value_kind:     hidden_global_offset_y
      - .offset:         88
        .size:           8
        .value_kind:     hidden_global_offset_z
      - .offset:         96
        .size:           2
        .value_kind:     hidden_grid_dims
    .group_segment_fixed_size: 0
    .kernarg_segment_align: 8
    .kernarg_segment_size: 288
    .language:       OpenCL C
    .language_version:
      - 2
      - 0
    .max_flat_workgroup_size: 256
    .name:           _ZN7rocprim17ROCPRIM_304000_NS6detail16transform_kernelINS1_24wrapped_transform_configINS0_14default_configEiEEiPKiPiNS0_8identityIiEEEEvT1_mT2_T3_
    .private_segment_fixed_size: 0
    .sgpr_count:     24
    .sgpr_spill_count: 0
    .symbol:         _ZN7rocprim17ROCPRIM_304000_NS6detail16transform_kernelINS1_24wrapped_transform_configINS0_14default_configEiEEiPKiPiNS0_8identityIiEEEEvT1_mT2_T3_.kd
    .uniform_work_group_size: 1
    .uses_dynamic_stack: false
    .vgpr_count:     28
    .vgpr_spill_count: 0
    .wavefront_size: 32
    .workgroup_processor_mode: 1
  - .args:
      - .address_space:  global
        .offset:         0
        .size:           8
        .value_kind:     global_buffer
      - .offset:         8
        .size:           8
        .value_kind:     by_value
      - .address_space:  global
        .offset:         16
        .size:           8
        .value_kind:     global_buffer
      - .offset:         24
        .size:           1
        .value_kind:     by_value
      - .offset:         32
        .size:           4
        .value_kind:     hidden_block_count_x
      - .offset:         36
        .size:           4
        .value_kind:     hidden_block_count_y
      - .offset:         40
        .size:           4
        .value_kind:     hidden_block_count_z
      - .offset:         44
        .size:           2
        .value_kind:     hidden_group_size_x
      - .offset:         46
        .size:           2
        .value_kind:     hidden_group_size_y
      - .offset:         48
        .size:           2
        .value_kind:     hidden_group_size_z
      - .offset:         50
        .size:           2
        .value_kind:     hidden_remainder_x
      - .offset:         52
        .size:           2
        .value_kind:     hidden_remainder_y
      - .offset:         54
        .size:           2
        .value_kind:     hidden_remainder_z
      - .offset:         72
        .size:           8
        .value_kind:     hidden_global_offset_x
      - .offset:         80
        .size:           8
        .value_kind:     hidden_global_offset_y
      - .offset:         88
        .size:           8
        .value_kind:     hidden_global_offset_z
      - .offset:         96
        .size:           2
        .value_kind:     hidden_grid_dims
    .group_segment_fixed_size: 0
    .kernarg_segment_align: 8
    .kernarg_segment_size: 288
    .language:       OpenCL C
    .language_version:
      - 2
      - 0
    .max_flat_workgroup_size: 1024
    .name:           _ZN7rocprim17ROCPRIM_304000_NS6detail16transform_kernelINS1_24wrapped_transform_configINS0_14default_configEN2at4cuda3cub6detail10OpaqueTypeILi1EEEEESA_PKSA_PSA_NS0_8identityISA_EEEEvT1_mT2_T3_
    .private_segment_fixed_size: 0
    .sgpr_count:     18
    .sgpr_spill_count: 0
    .symbol:         _ZN7rocprim17ROCPRIM_304000_NS6detail16transform_kernelINS1_24wrapped_transform_configINS0_14default_configEN2at4cuda3cub6detail10OpaqueTypeILi1EEEEESA_PKSA_PSA_NS0_8identityISA_EEEEvT1_mT2_T3_.kd
    .uniform_work_group_size: 1
    .uses_dynamic_stack: false
    .vgpr_count:     9
    .vgpr_spill_count: 0
    .wavefront_size: 32
    .workgroup_processor_mode: 1
  - .args:
      - .address_space:  global
        .offset:         0
        .size:           8
        .value_kind:     global_buffer
      - .address_space:  global
        .offset:         8
        .size:           8
        .value_kind:     global_buffer
      - .address_space:  global
        .offset:         16
        .size:           8
        .value_kind:     global_buffer
      - .address_space:  global
        .offset:         24
        .size:           8
        .value_kind:     global_buffer
      - .offset:         32
        .size:           4
        .value_kind:     by_value
      - .address_space:  global
        .offset:         40
        .size:           8
        .value_kind:     global_buffer
      - .address_space:  global
        .offset:         48
        .size:           8
        .value_kind:     global_buffer
      - .address_space:  global
        .offset:         56
        .size:           8
        .value_kind:     global_buffer
      - .offset:         64
        .size:           1
        .value_kind:     by_value
      - .offset:         68
        .size:           4
        .value_kind:     by_value
      - .offset:         72
        .size:           4
        .value_kind:     by_value
      - .offset:         76
        .size:           4
        .value_kind:     by_value
      - .offset:         80
        .size:           4
        .value_kind:     hidden_block_count_x
      - .offset:         84
        .size:           4
        .value_kind:     hidden_block_count_y
      - .offset:         88
        .size:           4
        .value_kind:     hidden_block_count_z
      - .offset:         92
        .size:           2
        .value_kind:     hidden_group_size_x
      - .offset:         94
        .size:           2
        .value_kind:     hidden_group_size_y
      - .offset:         96
        .size:           2
        .value_kind:     hidden_group_size_z
      - .offset:         98
        .size:           2
        .value_kind:     hidden_remainder_x
      - .offset:         100
        .size:           2
        .value_kind:     hidden_remainder_y
      - .offset:         102
        .size:           2
        .value_kind:     hidden_remainder_z
      - .offset:         120
        .size:           8
        .value_kind:     hidden_global_offset_x
      - .offset:         128
        .size:           8
        .value_kind:     hidden_global_offset_y
      - .offset:         136
        .size:           8
        .value_kind:     hidden_global_offset_z
      - .offset:         144
        .size:           2
        .value_kind:     hidden_grid_dims
    .group_segment_fixed_size: 47104
    .kernarg_segment_align: 8
    .kernarg_segment_size: 336
    .language:       OpenCL C
    .language_version:
      - 2
      - 0
    .max_flat_workgroup_size: 512
    .name:           _ZN7rocprim17ROCPRIM_304000_NS6detail25onesweep_iteration_kernelINS1_34wrapped_radix_sort_onesweep_configINS0_14default_configEiN2at4cuda3cub6detail10OpaqueTypeILi1EEEEELb1EPKiPiPKSA_PSA_mNS0_19identity_decomposerEEEvT1_T2_T3_T4_jPT5_SO_PNS1_23onesweep_lookback_stateET6_jjj
    .private_segment_fixed_size: 0
    .sgpr_count:     72
    .sgpr_spill_count: 0
    .symbol:         _ZN7rocprim17ROCPRIM_304000_NS6detail25onesweep_iteration_kernelINS1_34wrapped_radix_sort_onesweep_configINS0_14default_configEiN2at4cuda3cub6detail10OpaqueTypeILi1EEEEELb1EPKiPiPKSA_PSA_mNS0_19identity_decomposerEEEvT1_T2_T3_T4_jPT5_SO_PNS1_23onesweep_lookback_stateET6_jjj.kd
    .uniform_work_group_size: 1
    .uses_dynamic_stack: false
    .vgpr_count:     106
    .vgpr_spill_count: 0
    .wavefront_size: 32
    .workgroup_processor_mode: 1
  - .args:
      - .address_space:  global
        .offset:         0
        .size:           8
        .value_kind:     global_buffer
      - .address_space:  global
        .offset:         8
        .size:           8
        .value_kind:     global_buffer
      - .address_space:  global
        .offset:         16
        .size:           8
        .value_kind:     global_buffer
      - .address_space:  global
        .offset:         24
        .size:           8
        .value_kind:     global_buffer
      - .offset:         32
        .size:           4
        .value_kind:     by_value
      - .address_space:  global
        .offset:         40
        .size:           8
        .value_kind:     global_buffer
      - .address_space:  global
        .offset:         48
        .size:           8
        .value_kind:     global_buffer
      - .address_space:  global
        .offset:         56
        .size:           8
        .value_kind:     global_buffer
      - .offset:         64
        .size:           1
        .value_kind:     by_value
      - .offset:         68
        .size:           4
        .value_kind:     by_value
      - .offset:         72
        .size:           4
        .value_kind:     by_value
      - .offset:         76
        .size:           4
        .value_kind:     by_value
      - .offset:         80
        .size:           4
        .value_kind:     hidden_block_count_x
      - .offset:         84
        .size:           4
        .value_kind:     hidden_block_count_y
      - .offset:         88
        .size:           4
        .value_kind:     hidden_block_count_z
      - .offset:         92
        .size:           2
        .value_kind:     hidden_group_size_x
      - .offset:         94
        .size:           2
        .value_kind:     hidden_group_size_y
      - .offset:         96
        .size:           2
        .value_kind:     hidden_group_size_z
      - .offset:         98
        .size:           2
        .value_kind:     hidden_remainder_x
      - .offset:         100
        .size:           2
        .value_kind:     hidden_remainder_y
      - .offset:         102
        .size:           2
        .value_kind:     hidden_remainder_z
      - .offset:         120
        .size:           8
        .value_kind:     hidden_global_offset_x
      - .offset:         128
        .size:           8
        .value_kind:     hidden_global_offset_y
      - .offset:         136
        .size:           8
        .value_kind:     hidden_global_offset_z
      - .offset:         144
        .size:           2
        .value_kind:     hidden_grid_dims
    .group_segment_fixed_size: 47104
    .kernarg_segment_align: 8
    .kernarg_segment_size: 336
    .language:       OpenCL C
    .language_version:
      - 2
      - 0
    .max_flat_workgroup_size: 512
    .name:           _ZN7rocprim17ROCPRIM_304000_NS6detail25onesweep_iteration_kernelINS1_34wrapped_radix_sort_onesweep_configINS0_14default_configEiN2at4cuda3cub6detail10OpaqueTypeILi1EEEEELb1EPiSC_PSA_SD_mNS0_19identity_decomposerEEEvT1_T2_T3_T4_jPT5_SK_PNS1_23onesweep_lookback_stateET6_jjj
    .private_segment_fixed_size: 0
    .sgpr_count:     72
    .sgpr_spill_count: 0
    .symbol:         _ZN7rocprim17ROCPRIM_304000_NS6detail25onesweep_iteration_kernelINS1_34wrapped_radix_sort_onesweep_configINS0_14default_configEiN2at4cuda3cub6detail10OpaqueTypeILi1EEEEELb1EPiSC_PSA_SD_mNS0_19identity_decomposerEEEvT1_T2_T3_T4_jPT5_SK_PNS1_23onesweep_lookback_stateET6_jjj.kd
    .uniform_work_group_size: 1
    .uses_dynamic_stack: false
    .vgpr_count:     106
    .vgpr_spill_count: 0
    .wavefront_size: 32
    .workgroup_processor_mode: 1
  - .args:
      - .address_space:  global
        .offset:         0
        .size:           8
        .value_kind:     global_buffer
      - .address_space:  global
        .offset:         8
        .size:           8
        .value_kind:     global_buffer
      - .address_space:  global
        .offset:         16
        .size:           8
        .value_kind:     global_buffer
      - .address_space:  global
        .offset:         24
        .size:           8
        .value_kind:     global_buffer
      - .offset:         32
        .size:           4
        .value_kind:     by_value
      - .offset:         36
        .size:           1
        .value_kind:     by_value
      - .offset:         40
        .size:           4
        .value_kind:     by_value
      - .offset:         44
        .size:           4
        .value_kind:     by_value
      - .offset:         48
        .size:           4
        .value_kind:     hidden_block_count_x
      - .offset:         52
        .size:           4
        .value_kind:     hidden_block_count_y
      - .offset:         56
        .size:           4
        .value_kind:     hidden_block_count_z
      - .offset:         60
        .size:           2
        .value_kind:     hidden_group_size_x
      - .offset:         62
        .size:           2
        .value_kind:     hidden_group_size_y
      - .offset:         64
        .size:           2
        .value_kind:     hidden_group_size_z
      - .offset:         66
        .size:           2
        .value_kind:     hidden_remainder_x
      - .offset:         68
        .size:           2
        .value_kind:     hidden_remainder_y
      - .offset:         70
        .size:           2
        .value_kind:     hidden_remainder_z
      - .offset:         88
        .size:           8
        .value_kind:     hidden_global_offset_x
      - .offset:         96
        .size:           8
        .value_kind:     hidden_global_offset_y
      - .offset:         104
        .size:           8
        .value_kind:     hidden_global_offset_z
      - .offset:         112
        .size:           2
        .value_kind:     hidden_grid_dims
    .group_segment_fixed_size: 8224
    .kernarg_segment_align: 8
    .kernarg_segment_size: 304
    .language:       OpenCL C
    .language_version:
      - 2
      - 0
    .max_flat_workgroup_size: 256
    .name:           _ZN7rocprim17ROCPRIM_304000_NS6detail28radix_sort_block_sort_kernelINS1_36wrapped_radix_sort_block_sort_configINS0_13kernel_configILj256ELj4ELj4294967295EEEiN2at4cuda3cub6detail10OpaqueTypeILi1EEEEELb0EPKiPiPKSB_PSB_NS0_19identity_decomposerEEEvT1_T2_T3_T4_jT5_jj
    .private_segment_fixed_size: 0
    .sgpr_count:     34
    .sgpr_spill_count: 0
    .symbol:         _ZN7rocprim17ROCPRIM_304000_NS6detail28radix_sort_block_sort_kernelINS1_36wrapped_radix_sort_block_sort_configINS0_13kernel_configILj256ELj4ELj4294967295EEEiN2at4cuda3cub6detail10OpaqueTypeILi1EEEEELb0EPKiPiPKSB_PSB_NS0_19identity_decomposerEEEvT1_T2_T3_T4_jT5_jj.kd
    .uniform_work_group_size: 1
    .uses_dynamic_stack: false
    .vgpr_count:     51
    .vgpr_spill_count: 0
    .wavefront_size: 32
    .workgroup_processor_mode: 1
  - .args:
      - .address_space:  global
        .offset:         0
        .size:           8
        .value_kind:     global_buffer
      - .offset:         8
        .size:           4
        .value_kind:     by_value
      - .offset:         12
        .size:           4
        .value_kind:     by_value
      - .address_space:  global
        .offset:         16
        .size:           8
        .value_kind:     global_buffer
      - .offset:         24
        .size:           1
        .value_kind:     by_value
      - .offset:         28
        .size:           4
        .value_kind:     by_value
    .group_segment_fixed_size: 0
    .kernarg_segment_align: 8
    .kernarg_segment_size: 32
    .language:       OpenCL C
    .language_version:
      - 2
      - 0
    .max_flat_workgroup_size: 128
    .name:           _ZN7rocprim17ROCPRIM_304000_NS6detail45device_block_merge_mergepath_partition_kernelINS1_37wrapped_merge_sort_block_merge_configINS0_14default_configEiN2at4cuda3cub6detail10OpaqueTypeILi1EEEEEPijNS1_19radix_merge_compareILb0ELb0EiNS0_19identity_decomposerEEEEEvT0_T1_jPSH_T2_SH_
    .private_segment_fixed_size: 0
    .sgpr_count:     18
    .sgpr_spill_count: 0
    .symbol:         _ZN7rocprim17ROCPRIM_304000_NS6detail45device_block_merge_mergepath_partition_kernelINS1_37wrapped_merge_sort_block_merge_configINS0_14default_configEiN2at4cuda3cub6detail10OpaqueTypeILi1EEEEEPijNS1_19radix_merge_compareILb0ELb0EiNS0_19identity_decomposerEEEEEvT0_T1_jPSH_T2_SH_.kd
    .uniform_work_group_size: 1
    .uses_dynamic_stack: false
    .vgpr_count:     15
    .vgpr_spill_count: 0
    .wavefront_size: 32
    .workgroup_processor_mode: 1
  - .args:
      - .address_space:  global
        .offset:         0
        .size:           8
        .value_kind:     global_buffer
      - .address_space:  global
        .offset:         8
        .size:           8
        .value_kind:     global_buffer
      - .address_space:  global
        .offset:         16
        .size:           8
        .value_kind:     global_buffer
      - .address_space:  global
        .offset:         24
        .size:           8
        .value_kind:     global_buffer
      - .offset:         32
        .size:           4
        .value_kind:     by_value
      - .offset:         36
        .size:           4
        .value_kind:     by_value
      - .offset:         40
        .size:           4
        .value_kind:     by_value
      - .offset:         44
        .size:           1
        .value_kind:     by_value
      - .address_space:  global
        .offset:         48
        .size:           8
        .value_kind:     global_buffer
      - .address_space:  global
        .offset:         56
        .size:           8
        .value_kind:     global_buffer
      - .offset:         64
        .size:           4
        .value_kind:     hidden_block_count_x
      - .offset:         68
        .size:           4
        .value_kind:     hidden_block_count_y
      - .offset:         72
        .size:           4
        .value_kind:     hidden_block_count_z
      - .offset:         76
        .size:           2
        .value_kind:     hidden_group_size_x
      - .offset:         78
        .size:           2
        .value_kind:     hidden_group_size_y
      - .offset:         80
        .size:           2
        .value_kind:     hidden_group_size_z
      - .offset:         82
        .size:           2
        .value_kind:     hidden_remainder_x
      - .offset:         84
        .size:           2
        .value_kind:     hidden_remainder_y
      - .offset:         86
        .size:           2
        .value_kind:     hidden_remainder_z
      - .offset:         104
        .size:           8
        .value_kind:     hidden_global_offset_x
      - .offset:         112
        .size:           8
        .value_kind:     hidden_global_offset_y
      - .offset:         120
        .size:           8
        .value_kind:     hidden_global_offset_z
      - .offset:         128
        .size:           2
        .value_kind:     hidden_grid_dims
    .group_segment_fixed_size: 4224
    .kernarg_segment_align: 8
    .kernarg_segment_size: 320
    .language:       OpenCL C
    .language_version:
      - 2
      - 0
    .max_flat_workgroup_size: 256
    .name:           _ZN7rocprim17ROCPRIM_304000_NS6detail35device_block_merge_mergepath_kernelINS1_37wrapped_merge_sort_block_merge_configINS0_14default_configEiN2at4cuda3cub6detail10OpaqueTypeILi1EEEEEPiSC_PSA_SD_jNS1_19radix_merge_compareILb0ELb0EiNS0_19identity_decomposerEEEEEvT0_T1_T2_T3_T4_SL_jT5_PKSL_NS1_7vsmem_tE
    .private_segment_fixed_size: 0
    .sgpr_count:     30
    .sgpr_spill_count: 0
    .symbol:         _ZN7rocprim17ROCPRIM_304000_NS6detail35device_block_merge_mergepath_kernelINS1_37wrapped_merge_sort_block_merge_configINS0_14default_configEiN2at4cuda3cub6detail10OpaqueTypeILi1EEEEEPiSC_PSA_SD_jNS1_19radix_merge_compareILb0ELb0EiNS0_19identity_decomposerEEEEEvT0_T1_T2_T3_T4_SL_jT5_PKSL_NS1_7vsmem_tE.kd
    .uniform_work_group_size: 1
    .uses_dynamic_stack: false
    .vgpr_count:     27
    .vgpr_spill_count: 0
    .wavefront_size: 32
    .workgroup_processor_mode: 1
  - .args:
      - .address_space:  global
        .offset:         0
        .size:           8
        .value_kind:     global_buffer
      - .address_space:  global
        .offset:         8
        .size:           8
        .value_kind:     global_buffer
      - .address_space:  global
        .offset:         16
        .size:           8
        .value_kind:     global_buffer
      - .address_space:  global
        .offset:         24
        .size:           8
        .value_kind:     global_buffer
      - .offset:         32
        .size:           4
        .value_kind:     by_value
      - .offset:         36
        .size:           4
        .value_kind:     by_value
      - .offset:         40
        .size:           1
        .value_kind:     by_value
    .group_segment_fixed_size: 0
    .kernarg_segment_align: 8
    .kernarg_segment_size: 44
    .language:       OpenCL C
    .language_version:
      - 2
      - 0
    .max_flat_workgroup_size: 256
    .name:           _ZN7rocprim17ROCPRIM_304000_NS6detail33device_block_merge_oddeven_kernelINS1_37wrapped_merge_sort_block_merge_configINS0_14default_configEiN2at4cuda3cub6detail10OpaqueTypeILi1EEEEEPiSC_PSA_SD_jNS1_19radix_merge_compareILb0ELb0EiNS0_19identity_decomposerEEEEEvT0_T1_T2_T3_T4_SL_T5_
    .private_segment_fixed_size: 0
    .sgpr_count:     20
    .sgpr_spill_count: 0
    .symbol:         _ZN7rocprim17ROCPRIM_304000_NS6detail33device_block_merge_oddeven_kernelINS1_37wrapped_merge_sort_block_merge_configINS0_14default_configEiN2at4cuda3cub6detail10OpaqueTypeILi1EEEEEPiSC_PSA_SD_jNS1_19radix_merge_compareILb0ELb0EiNS0_19identity_decomposerEEEEEvT0_T1_T2_T3_T4_SL_T5_.kd
    .uniform_work_group_size: 1
    .uses_dynamic_stack: false
    .vgpr_count:     9
    .vgpr_spill_count: 0
    .wavefront_size: 32
    .workgroup_processor_mode: 1
  - .args:
      - .address_space:  global
        .offset:         0
        .size:           8
        .value_kind:     global_buffer
      - .offset:         8
        .size:           4
        .value_kind:     by_value
      - .offset:         12
        .size:           4
        .value_kind:     by_value
      - .address_space:  global
        .offset:         16
        .size:           8
        .value_kind:     global_buffer
      - .offset:         24
        .size:           4
        .value_kind:     by_value
      - .offset:         28
        .size:           4
        .value_kind:     by_value
    .group_segment_fixed_size: 0
    .kernarg_segment_align: 8
    .kernarg_segment_size: 32
    .language:       OpenCL C
    .language_version:
      - 2
      - 0
    .max_flat_workgroup_size: 128
    .name:           _ZN7rocprim17ROCPRIM_304000_NS6detail45device_block_merge_mergepath_partition_kernelINS1_37wrapped_merge_sort_block_merge_configINS0_14default_configEiN2at4cuda3cub6detail10OpaqueTypeILi1EEEEEPijNS1_19radix_merge_compareILb0ELb1EiNS0_19identity_decomposerEEEEEvT0_T1_jPSH_T2_SH_
    .private_segment_fixed_size: 0
    .sgpr_count:     18
    .sgpr_spill_count: 0
    .symbol:         _ZN7rocprim17ROCPRIM_304000_NS6detail45device_block_merge_mergepath_partition_kernelINS1_37wrapped_merge_sort_block_merge_configINS0_14default_configEiN2at4cuda3cub6detail10OpaqueTypeILi1EEEEEPijNS1_19radix_merge_compareILb0ELb1EiNS0_19identity_decomposerEEEEEvT0_T1_jPSH_T2_SH_.kd
    .uniform_work_group_size: 1
    .uses_dynamic_stack: false
    .vgpr_count:     15
    .vgpr_spill_count: 0
    .wavefront_size: 32
    .workgroup_processor_mode: 1
  - .args:
      - .address_space:  global
        .offset:         0
        .size:           8
        .value_kind:     global_buffer
      - .address_space:  global
        .offset:         8
        .size:           8
        .value_kind:     global_buffer
      - .address_space:  global
        .offset:         16
        .size:           8
        .value_kind:     global_buffer
      - .address_space:  global
        .offset:         24
        .size:           8
        .value_kind:     global_buffer
      - .offset:         32
        .size:           4
        .value_kind:     by_value
      - .offset:         36
        .size:           4
        .value_kind:     by_value
      - .offset:         40
        .size:           4
        .value_kind:     by_value
      - .offset:         44
        .size:           4
        .value_kind:     by_value
      - .address_space:  global
        .offset:         48
        .size:           8
        .value_kind:     global_buffer
      - .address_space:  global
        .offset:         56
        .size:           8
        .value_kind:     global_buffer
      - .offset:         64
        .size:           4
        .value_kind:     hidden_block_count_x
      - .offset:         68
        .size:           4
        .value_kind:     hidden_block_count_y
      - .offset:         72
        .size:           4
        .value_kind:     hidden_block_count_z
      - .offset:         76
        .size:           2
        .value_kind:     hidden_group_size_x
      - .offset:         78
        .size:           2
        .value_kind:     hidden_group_size_y
      - .offset:         80
        .size:           2
        .value_kind:     hidden_group_size_z
      - .offset:         82
        .size:           2
        .value_kind:     hidden_remainder_x
      - .offset:         84
        .size:           2
        .value_kind:     hidden_remainder_y
      - .offset:         86
        .size:           2
        .value_kind:     hidden_remainder_z
      - .offset:         104
        .size:           8
        .value_kind:     hidden_global_offset_x
      - .offset:         112
        .size:           8
        .value_kind:     hidden_global_offset_y
      - .offset:         120
        .size:           8
        .value_kind:     hidden_global_offset_z
      - .offset:         128
        .size:           2
        .value_kind:     hidden_grid_dims
    .group_segment_fixed_size: 4224
    .kernarg_segment_align: 8
    .kernarg_segment_size: 320
    .language:       OpenCL C
    .language_version:
      - 2
      - 0
    .max_flat_workgroup_size: 256
    .name:           _ZN7rocprim17ROCPRIM_304000_NS6detail35device_block_merge_mergepath_kernelINS1_37wrapped_merge_sort_block_merge_configINS0_14default_configEiN2at4cuda3cub6detail10OpaqueTypeILi1EEEEEPiSC_PSA_SD_jNS1_19radix_merge_compareILb0ELb1EiNS0_19identity_decomposerEEEEEvT0_T1_T2_T3_T4_SL_jT5_PKSL_NS1_7vsmem_tE
    .private_segment_fixed_size: 0
    .sgpr_count:     31
    .sgpr_spill_count: 0
    .symbol:         _ZN7rocprim17ROCPRIM_304000_NS6detail35device_block_merge_mergepath_kernelINS1_37wrapped_merge_sort_block_merge_configINS0_14default_configEiN2at4cuda3cub6detail10OpaqueTypeILi1EEEEEPiSC_PSA_SD_jNS1_19radix_merge_compareILb0ELb1EiNS0_19identity_decomposerEEEEEvT0_T1_T2_T3_T4_SL_jT5_PKSL_NS1_7vsmem_tE.kd
    .uniform_work_group_size: 1
    .uses_dynamic_stack: false
    .vgpr_count:     27
    .vgpr_spill_count: 0
    .wavefront_size: 32
    .workgroup_processor_mode: 1
  - .args:
      - .address_space:  global
        .offset:         0
        .size:           8
        .value_kind:     global_buffer
      - .address_space:  global
        .offset:         8
        .size:           8
        .value_kind:     global_buffer
      - .address_space:  global
        .offset:         16
        .size:           8
        .value_kind:     global_buffer
      - .address_space:  global
        .offset:         24
        .size:           8
        .value_kind:     global_buffer
      - .offset:         32
        .size:           4
        .value_kind:     by_value
      - .offset:         36
        .size:           4
        .value_kind:     by_value
      - .offset:         40
        .size:           4
        .value_kind:     by_value
    .group_segment_fixed_size: 0
    .kernarg_segment_align: 8
    .kernarg_segment_size: 44
    .language:       OpenCL C
    .language_version:
      - 2
      - 0
    .max_flat_workgroup_size: 256
    .name:           _ZN7rocprim17ROCPRIM_304000_NS6detail33device_block_merge_oddeven_kernelINS1_37wrapped_merge_sort_block_merge_configINS0_14default_configEiN2at4cuda3cub6detail10OpaqueTypeILi1EEEEEPiSC_PSA_SD_jNS1_19radix_merge_compareILb0ELb1EiNS0_19identity_decomposerEEEEEvT0_T1_T2_T3_T4_SL_T5_
    .private_segment_fixed_size: 0
    .sgpr_count:     22
    .sgpr_spill_count: 0
    .symbol:         _ZN7rocprim17ROCPRIM_304000_NS6detail33device_block_merge_oddeven_kernelINS1_37wrapped_merge_sort_block_merge_configINS0_14default_configEiN2at4cuda3cub6detail10OpaqueTypeILi1EEEEEPiSC_PSA_SD_jNS1_19radix_merge_compareILb0ELb1EiNS0_19identity_decomposerEEEEEvT0_T1_T2_T3_T4_SL_T5_.kd
    .uniform_work_group_size: 1
    .uses_dynamic_stack: false
    .vgpr_count:     10
    .vgpr_spill_count: 0
    .wavefront_size: 32
    .workgroup_processor_mode: 1
  - .args:
      - .address_space:  global
        .offset:         0
        .size:           8
        .value_kind:     global_buffer
      - .address_space:  global
        .offset:         8
        .size:           8
        .value_kind:     global_buffer
      - .offset:         16
        .size:           8
        .value_kind:     by_value
      - .offset:         24
        .size:           8
        .value_kind:     by_value
      - .offset:         32
        .size:           1
        .value_kind:     by_value
      - .offset:         36
        .size:           4
        .value_kind:     by_value
      - .offset:         40
        .size:           4
        .value_kind:     by_value
    .group_segment_fixed_size: 16384
    .kernarg_segment_align: 8
    .kernarg_segment_size: 44
    .language:       OpenCL C
    .language_version:
      - 2
      - 0
    .max_flat_workgroup_size: 512
    .name:           _ZN7rocprim17ROCPRIM_304000_NS6detail26onesweep_histograms_kernelINS1_34wrapped_radix_sort_onesweep_configINS0_14default_configEiN2at4cuda3cub6detail10OpaqueTypeILi1EEEEELb0EPKimNS0_19identity_decomposerEEEvT1_PT2_SG_SG_T3_jj
    .private_segment_fixed_size: 0
    .sgpr_count:     36
    .sgpr_spill_count: 0
    .symbol:         _ZN7rocprim17ROCPRIM_304000_NS6detail26onesweep_histograms_kernelINS1_34wrapped_radix_sort_onesweep_configINS0_14default_configEiN2at4cuda3cub6detail10OpaqueTypeILi1EEEEELb0EPKimNS0_19identity_decomposerEEEvT1_PT2_SG_SG_T3_jj.kd
    .uniform_work_group_size: 1
    .uses_dynamic_stack: false
    .vgpr_count:     36
    .vgpr_spill_count: 0
    .wavefront_size: 32
    .workgroup_processor_mode: 1
  - .args:
      - .address_space:  global
        .offset:         0
        .size:           8
        .value_kind:     global_buffer
      - .address_space:  global
        .offset:         8
        .size:           8
        .value_kind:     global_buffer
      - .address_space:  global
        .offset:         16
        .size:           8
        .value_kind:     global_buffer
      - .address_space:  global
        .offset:         24
        .size:           8
        .value_kind:     global_buffer
      - .offset:         32
        .size:           4
        .value_kind:     by_value
      - .address_space:  global
        .offset:         40
        .size:           8
        .value_kind:     global_buffer
      - .address_space:  global
        .offset:         48
        .size:           8
        .value_kind:     global_buffer
      - .address_space:  global
        .offset:         56
        .size:           8
        .value_kind:     global_buffer
      - .offset:         64
        .size:           1
        .value_kind:     by_value
      - .offset:         68
        .size:           4
        .value_kind:     by_value
      - .offset:         72
        .size:           4
        .value_kind:     by_value
      - .offset:         76
        .size:           4
        .value_kind:     by_value
      - .offset:         80
        .size:           4
        .value_kind:     hidden_block_count_x
      - .offset:         84
        .size:           4
        .value_kind:     hidden_block_count_y
      - .offset:         88
        .size:           4
        .value_kind:     hidden_block_count_z
      - .offset:         92
        .size:           2
        .value_kind:     hidden_group_size_x
      - .offset:         94
        .size:           2
        .value_kind:     hidden_group_size_y
      - .offset:         96
        .size:           2
        .value_kind:     hidden_group_size_z
      - .offset:         98
        .size:           2
        .value_kind:     hidden_remainder_x
      - .offset:         100
        .size:           2
        .value_kind:     hidden_remainder_y
      - .offset:         102
        .size:           2
        .value_kind:     hidden_remainder_z
      - .offset:         120
        .size:           8
        .value_kind:     hidden_global_offset_x
      - .offset:         128
        .size:           8
        .value_kind:     hidden_global_offset_y
      - .offset:         136
        .size:           8
        .value_kind:     hidden_global_offset_z
      - .offset:         144
        .size:           2
        .value_kind:     hidden_grid_dims
    .group_segment_fixed_size: 47104
    .kernarg_segment_align: 8
    .kernarg_segment_size: 336
    .language:       OpenCL C
    .language_version:
      - 2
      - 0
    .max_flat_workgroup_size: 512
    .name:           _ZN7rocprim17ROCPRIM_304000_NS6detail25onesweep_iteration_kernelINS1_34wrapped_radix_sort_onesweep_configINS0_14default_configEiN2at4cuda3cub6detail10OpaqueTypeILi1EEEEELb0EPKiPiPKSA_PSA_mNS0_19identity_decomposerEEEvT1_T2_T3_T4_jPT5_SO_PNS1_23onesweep_lookback_stateET6_jjj
    .private_segment_fixed_size: 0
    .sgpr_count:     72
    .sgpr_spill_count: 0
    .symbol:         _ZN7rocprim17ROCPRIM_304000_NS6detail25onesweep_iteration_kernelINS1_34wrapped_radix_sort_onesweep_configINS0_14default_configEiN2at4cuda3cub6detail10OpaqueTypeILi1EEEEELb0EPKiPiPKSA_PSA_mNS0_19identity_decomposerEEEvT1_T2_T3_T4_jPT5_SO_PNS1_23onesweep_lookback_stateET6_jjj.kd
    .uniform_work_group_size: 1
    .uses_dynamic_stack: false
    .vgpr_count:     106
    .vgpr_spill_count: 0
    .wavefront_size: 32
    .workgroup_processor_mode: 1
  - .args:
      - .address_space:  global
        .offset:         0
        .size:           8
        .value_kind:     global_buffer
      - .address_space:  global
        .offset:         8
        .size:           8
        .value_kind:     global_buffer
      - .address_space:  global
        .offset:         16
        .size:           8
        .value_kind:     global_buffer
      - .address_space:  global
        .offset:         24
        .size:           8
        .value_kind:     global_buffer
      - .offset:         32
        .size:           4
        .value_kind:     by_value
      - .address_space:  global
        .offset:         40
        .size:           8
        .value_kind:     global_buffer
      - .address_space:  global
        .offset:         48
        .size:           8
        .value_kind:     global_buffer
      - .address_space:  global
        .offset:         56
        .size:           8
        .value_kind:     global_buffer
      - .offset:         64
        .size:           1
        .value_kind:     by_value
      - .offset:         68
        .size:           4
        .value_kind:     by_value
      - .offset:         72
        .size:           4
        .value_kind:     by_value
      - .offset:         76
        .size:           4
        .value_kind:     by_value
      - .offset:         80
        .size:           4
        .value_kind:     hidden_block_count_x
      - .offset:         84
        .size:           4
        .value_kind:     hidden_block_count_y
      - .offset:         88
        .size:           4
        .value_kind:     hidden_block_count_z
      - .offset:         92
        .size:           2
        .value_kind:     hidden_group_size_x
      - .offset:         94
        .size:           2
        .value_kind:     hidden_group_size_y
      - .offset:         96
        .size:           2
        .value_kind:     hidden_group_size_z
      - .offset:         98
        .size:           2
        .value_kind:     hidden_remainder_x
      - .offset:         100
        .size:           2
        .value_kind:     hidden_remainder_y
      - .offset:         102
        .size:           2
        .value_kind:     hidden_remainder_z
      - .offset:         120
        .size:           8
        .value_kind:     hidden_global_offset_x
      - .offset:         128
        .size:           8
        .value_kind:     hidden_global_offset_y
      - .offset:         136
        .size:           8
        .value_kind:     hidden_global_offset_z
      - .offset:         144
        .size:           2
        .value_kind:     hidden_grid_dims
    .group_segment_fixed_size: 47104
    .kernarg_segment_align: 8
    .kernarg_segment_size: 336
    .language:       OpenCL C
    .language_version:
      - 2
      - 0
    .max_flat_workgroup_size: 512
    .name:           _ZN7rocprim17ROCPRIM_304000_NS6detail25onesweep_iteration_kernelINS1_34wrapped_radix_sort_onesweep_configINS0_14default_configEiN2at4cuda3cub6detail10OpaqueTypeILi1EEEEELb0EPiSC_PSA_SD_mNS0_19identity_decomposerEEEvT1_T2_T3_T4_jPT5_SK_PNS1_23onesweep_lookback_stateET6_jjj
    .private_segment_fixed_size: 0
    .sgpr_count:     72
    .sgpr_spill_count: 0
    .symbol:         _ZN7rocprim17ROCPRIM_304000_NS6detail25onesweep_iteration_kernelINS1_34wrapped_radix_sort_onesweep_configINS0_14default_configEiN2at4cuda3cub6detail10OpaqueTypeILi1EEEEELb0EPiSC_PSA_SD_mNS0_19identity_decomposerEEEvT1_T2_T3_T4_jPT5_SK_PNS1_23onesweep_lookback_stateET6_jjj.kd
    .uniform_work_group_size: 1
    .uses_dynamic_stack: false
    .vgpr_count:     106
    .vgpr_spill_count: 0
    .wavefront_size: 32
    .workgroup_processor_mode: 1
amdhsa.target:   amdgcn-amd-amdhsa--gfx1100
amdhsa.version:
  - 1
  - 2
...

	.end_amdgpu_metadata
